;; amdgpu-corpus repo=ROCm/rocm-examples kind=compiled arch=gfx1100 opt=O3
	.text
	.amdgcn_target "amdgcn-amd-amdhsa--gfx1100"
	.amdhsa_code_object_version 6
	.protected	_Z9transposePKiPiii     ; -- Begin function _Z9transposePKiPiii
	.globl	_Z9transposePKiPiii
	.p2align	8
	.type	_Z9transposePKiPiii,@function
_Z9transposePKiPiii:                    ; @_Z9transposePKiPiii
; %bb.0:
	s_clause 0x1
	s_load_b32 s6, s[0:1], 0x24
	s_load_b64 s[4:5], s[0:1], 0x10
	v_bfe_u32 v2, v0, 10, 10
	v_and_b32_e32 v3, 0x3ff, v0
	s_delay_alu instid0(VALU_DEP_2) | instskip(NEXT) | instid1(VALU_DEP_2)
	v_lshlrev_b32_e32 v5, 2, v2
	v_lshlrev_b32_e32 v4, 2, v3
	s_waitcnt lgkmcnt(0)
	s_lshr_b32 s2, s6, 16
	s_delay_alu instid0(SALU_CYCLE_1) | instskip(SKIP_2) | instid1(VALU_DEP_1)
	s_mul_i32 s15, s15, s2
	s_load_b128 s[0:3], s[0:1], 0x0
	v_add_nc_u32_e32 v1, s15, v2
	v_mul_lo_u32 v1, v1, s4
	s_and_b32 s4, s6, 0xffff
	s_delay_alu instid0(SALU_CYCLE_1)
	s_mul_i32 s14, s14, s4
	s_delay_alu instid0(VALU_DEP_1) | instid1(SALU_CYCLE_1)
	v_add3_u32 v0, s14, v3, v1
	s_delay_alu instid0(VALU_DEP_1) | instskip(NEXT) | instid1(VALU_DEP_1)
	v_ashrrev_i32_e32 v1, 31, v0
	v_lshlrev_b64 v[0:1], 2, v[0:1]
	s_waitcnt lgkmcnt(0)
	s_delay_alu instid0(VALU_DEP_1) | instskip(NEXT) | instid1(VALU_DEP_2)
	v_add_co_u32 v0, vcc_lo, s0, v0
	v_add_co_ci_u32_e32 v1, vcc_lo, s1, v1, vcc_lo
	global_load_b32 v1, v[0:1], off
	v_add_nc_u32_e32 v0, s14, v2
	v_lshl_add_u32 v2, v2, 7, v4
	v_lshl_add_u32 v4, v3, 7, v5
	s_delay_alu instid0(VALU_DEP_3) | instskip(NEXT) | instid1(VALU_DEP_1)
	v_mul_lo_u32 v0, v0, s5
	v_add3_u32 v0, s15, v3, v0
	s_waitcnt vmcnt(0)
	ds_store_b32 v2, v1
	s_waitcnt lgkmcnt(0)
	s_barrier
	buffer_gl0_inv
	ds_load_b32 v2, v4
	v_ashrrev_i32_e32 v1, 31, v0
	s_delay_alu instid0(VALU_DEP_1) | instskip(NEXT) | instid1(VALU_DEP_1)
	v_lshlrev_b64 v[0:1], 2, v[0:1]
	v_add_co_u32 v0, vcc_lo, s2, v0
	s_delay_alu instid0(VALU_DEP_2)
	v_add_co_ci_u32_e32 v1, vcc_lo, s3, v1, vcc_lo
	s_waitcnt lgkmcnt(0)
	global_store_b32 v[0:1], v2, off
	s_nop 0
	s_sendmsg sendmsg(MSG_DEALLOC_VGPRS)
	s_endpgm
	.section	.rodata,"a",@progbits
	.p2align	6, 0x0
	.amdhsa_kernel _Z9transposePKiPiii
		.amdhsa_group_segment_fixed_size 4096
		.amdhsa_private_segment_fixed_size 0
		.amdhsa_kernarg_size 280
		.amdhsa_user_sgpr_count 14
		.amdhsa_user_sgpr_dispatch_ptr 0
		.amdhsa_user_sgpr_queue_ptr 0
		.amdhsa_user_sgpr_kernarg_segment_ptr 1
		.amdhsa_user_sgpr_dispatch_id 0
		.amdhsa_user_sgpr_private_segment_size 0
		.amdhsa_wavefront_size32 1
		.amdhsa_uses_dynamic_stack 0
		.amdhsa_enable_private_segment 0
		.amdhsa_system_sgpr_workgroup_id_x 1
		.amdhsa_system_sgpr_workgroup_id_y 1
		.amdhsa_system_sgpr_workgroup_id_z 0
		.amdhsa_system_sgpr_workgroup_info 0
		.amdhsa_system_vgpr_workitem_id 1
		.amdhsa_next_free_vgpr 6
		.amdhsa_next_free_sgpr 16
		.amdhsa_reserve_vcc 1
		.amdhsa_float_round_mode_32 0
		.amdhsa_float_round_mode_16_64 0
		.amdhsa_float_denorm_mode_32 3
		.amdhsa_float_denorm_mode_16_64 3
		.amdhsa_dx10_clamp 1
		.amdhsa_ieee_mode 1
		.amdhsa_fp16_overflow 0
		.amdhsa_workgroup_processor_mode 1
		.amdhsa_memory_ordered 1
		.amdhsa_forward_progress 0
		.amdhsa_shared_vgpr_count 0
		.amdhsa_exception_fp_ieee_invalid_op 0
		.amdhsa_exception_fp_denorm_src 0
		.amdhsa_exception_fp_ieee_div_zero 0
		.amdhsa_exception_fp_ieee_overflow 0
		.amdhsa_exception_fp_ieee_underflow 0
		.amdhsa_exception_fp_ieee_inexact 0
		.amdhsa_exception_int_div_zero 0
	.end_amdhsa_kernel
	.text
.Lfunc_end0:
	.size	_Z9transposePKiPiii, .Lfunc_end0-_Z9transposePKiPiii
                                        ; -- End function
	.section	.AMDGPU.csdata,"",@progbits
; Kernel info:
; codeLenInByte = 288
; NumSgprs: 18
; NumVgprs: 6
; ScratchSize: 0
; MemoryBound: 0
; FloatMode: 240
; IeeeMode: 1
; LDSByteSize: 4096 bytes/workgroup (compile time only)
; SGPRBlocks: 2
; VGPRBlocks: 0
; NumSGPRsForWavesPerEU: 18
; NumVGPRsForWavesPerEU: 6
; Occupancy: 16
; WaveLimiterHint : 0
; COMPUTE_PGM_RSRC2:SCRATCH_EN: 0
; COMPUTE_PGM_RSRC2:USER_SGPR: 14
; COMPUTE_PGM_RSRC2:TRAP_HANDLER: 0
; COMPUTE_PGM_RSRC2:TGID_X_EN: 1
; COMPUTE_PGM_RSRC2:TGID_Y_EN: 1
; COMPUTE_PGM_RSRC2:TGID_Z_EN: 0
; COMPUTE_PGM_RSRC2:TIDIG_COMP_CNT: 1
	.text
	.protected	_Z15test_kern_largePm   ; -- Begin function _Z15test_kern_largePm
	.globl	_Z15test_kern_largePm
	.p2align	8
	.type	_Z15test_kern_largePm,@function
_Z15test_kern_largePm:                  ; @_Z15test_kern_largePm
; %bb.0:
	s_mov_b32 s4, 0x5050505
	s_movk_i32 s2, 0xf060
	s_mov_b32 s5, s4
	s_mov_b32 s6, s4
	;; [unrolled: 1-line block ×3, first 2 shown]
	s_delay_alu instid0(SALU_CYCLE_1)
	v_dual_mov_b32 v0, s4 :: v_dual_mov_b32 v3, s7
	v_dual_mov_b32 v4, 16 :: v_dual_mov_b32 v1, s5
	v_mov_b32_e32 v2, s6
	s_mov_b32 s3, -1
	.p2align	6
.LBB1_1:                                ; =>This Inner Loop Header: Depth=1
	s_clause 0x4
	scratch_store_b128 v4, v[0:3], off
	scratch_store_b128 v4, v[0:3], off offset:16
	scratch_store_b128 v4, v[0:3], off offset:32
	;; [unrolled: 1-line block ×4, first 2 shown]
	v_add_nc_u32_e32 v4, 0x50, v4
	s_add_u32 s2, s2, 0x50
	s_addc_u32 s3, s3, 0
	s_delay_alu instid0(SALU_CYCLE_1)
	s_cmp_lg_u64 s[2:3], 0
	s_cbranch_scc1 .LBB1_1
; %bb.2:
	s_load_b64 s[0:1], s[0:1], 0x0
	v_mov_b32_e32 v2, 16
	s_waitcnt lgkmcnt(0)
	s_load_b64 s[2:3], s[0:1], 0x0
	s_waitcnt lgkmcnt(0)
	v_dual_mov_b32 v0, s2 :: v_dual_mov_b32 v1, s3
	s_mov_b32 s2, 0
.LBB1_3:                                ; =>This Inner Loop Header: Depth=1
	s_delay_alu instid0(SALU_CYCLE_1)
	s_add_i32 s3, s2, 16
	v_readfirstlane_b32 s4, v2
	scratch_load_b128 v[3:6], off, s3
	s_add_i32 s4, s4, s2
	s_add_i32 s2, s2, 64
	;; [unrolled: 1-line block ×5, first 2 shown]
	s_clause 0x2
	scratch_load_b128 v[7:10], off, s5
	scratch_load_b128 v[11:14], off, s6
	scratch_load_b128 v[15:18], off, s4
	s_cmpk_eq_i32 s2, 0x3e80
	s_waitcnt vmcnt(3)
	v_add_nc_u32_e32 v3, 7, v3
	v_add_nc_u32_e32 v4, 7, v4
	;; [unrolled: 1-line block ×4, first 2 shown]
	s_delay_alu instid0(VALU_DEP_4) | instskip(SKIP_3) | instid1(VALU_DEP_4)
	v_ashrrev_i32_e32 v19, 31, v3
	v_add_co_u32 v0, vcc_lo, v0, v3
	v_ashrrev_i32_e32 v20, 31, v4
	v_ashrrev_i32_e32 v21, 31, v5
	v_add_co_ci_u32_e32 v1, vcc_lo, v1, v19, vcc_lo
	s_delay_alu instid0(VALU_DEP_4) | instskip(SKIP_1) | instid1(VALU_DEP_3)
	v_add_co_u32 v0, vcc_lo, v0, v4
	v_ashrrev_i32_e32 v22, 31, v6
	v_add_co_ci_u32_e32 v1, vcc_lo, v1, v20, vcc_lo
	s_delay_alu instid0(VALU_DEP_3) | instskip(SKIP_2) | instid1(VALU_DEP_3)
	v_add_co_u32 v0, vcc_lo, v0, v5
	s_waitcnt vmcnt(2)
	v_add_nc_u32_e32 v7, 7, v7
	v_add_co_ci_u32_e32 v1, vcc_lo, v1, v21, vcc_lo
	s_delay_alu instid0(VALU_DEP_3) | instskip(SKIP_1) | instid1(VALU_DEP_4)
	v_add_co_u32 v0, vcc_lo, v0, v6
	v_add_nc_u32_e32 v8, 7, v8
	v_ashrrev_i32_e32 v19, 31, v7
	s_delay_alu instid0(VALU_DEP_4) | instskip(NEXT) | instid1(VALU_DEP_4)
	v_add_co_ci_u32_e32 v1, vcc_lo, v1, v22, vcc_lo
	v_add_co_u32 v0, vcc_lo, v0, v7
	v_add_nc_u32_e32 v9, 7, v9
	v_ashrrev_i32_e32 v20, 31, v8
	s_delay_alu instid0(VALU_DEP_4) | instskip(NEXT) | instid1(VALU_DEP_4)
	v_add_co_ci_u32_e32 v1, vcc_lo, v1, v19, vcc_lo
	;; [unrolled: 5-line block ×3, first 2 shown]
	v_add_co_u32 v0, vcc_lo, v0, v9
	s_waitcnt vmcnt(1)
	v_add_nc_u32_e32 v11, 7, v11
	v_ashrrev_i32_e32 v20, 31, v10
	v_add_co_ci_u32_e32 v1, vcc_lo, v1, v19, vcc_lo
	v_add_co_u32 v0, vcc_lo, v0, v10
	v_add_nc_u32_e32 v12, 7, v12
	v_ashrrev_i32_e32 v19, 31, v11
	s_delay_alu instid0(VALU_DEP_4) | instskip(NEXT) | instid1(VALU_DEP_4)
	v_add_co_ci_u32_e32 v1, vcc_lo, v1, v20, vcc_lo
	v_add_co_u32 v0, vcc_lo, v0, v11
	v_add_nc_u32_e32 v13, 7, v13
	v_ashrrev_i32_e32 v20, 31, v12
	s_delay_alu instid0(VALU_DEP_4) | instskip(NEXT) | instid1(VALU_DEP_4)
	;; [unrolled: 5-line block ×3, first 2 shown]
	v_add_co_ci_u32_e32 v1, vcc_lo, v1, v20, vcc_lo
	v_add_co_u32 v0, vcc_lo, v0, v13
	s_waitcnt vmcnt(0)
	v_add_nc_u32_e32 v15, 7, v15
	v_ashrrev_i32_e32 v20, 31, v14
	v_add_co_ci_u32_e32 v1, vcc_lo, v1, v19, vcc_lo
	v_add_co_u32 v0, vcc_lo, v0, v14
	v_add_nc_u32_e32 v16, 7, v16
	v_ashrrev_i32_e32 v19, 31, v15
	s_delay_alu instid0(VALU_DEP_4) | instskip(NEXT) | instid1(VALU_DEP_4)
	v_add_co_ci_u32_e32 v1, vcc_lo, v1, v20, vcc_lo
	v_add_co_u32 v0, vcc_lo, v0, v15
	v_add_nc_u32_e32 v17, 7, v17
	v_ashrrev_i32_e32 v20, 31, v16
	s_delay_alu instid0(VALU_DEP_4) | instskip(NEXT) | instid1(VALU_DEP_4)
	v_add_co_ci_u32_e32 v1, vcc_lo, v1, v19, vcc_lo
	v_add_co_u32 v0, vcc_lo, v0, v16
	v_add_nc_u32_e32 v18, 7, v18
	v_ashrrev_i32_e32 v19, 31, v17
	s_delay_alu instid0(VALU_DEP_4) | instskip(NEXT) | instid1(VALU_DEP_4)
	v_add_co_ci_u32_e32 v1, vcc_lo, v1, v20, vcc_lo
	v_add_co_u32 v0, vcc_lo, v0, v17
	s_delay_alu instid0(VALU_DEP_4) | instskip(NEXT) | instid1(VALU_DEP_3)
	v_ashrrev_i32_e32 v20, 31, v18
	v_add_co_ci_u32_e32 v1, vcc_lo, v1, v19, vcc_lo
	s_delay_alu instid0(VALU_DEP_3)
	v_add_co_u32 v0, vcc_lo, v0, v18
	s_clause 0x3
	scratch_store_b128 off, v[3:6], s3
	scratch_store_b128 off, v[7:10], s5
	;; [unrolled: 1-line block ×4, first 2 shown]
	v_add_co_ci_u32_e32 v1, vcc_lo, v1, v20, vcc_lo
	s_cbranch_scc0 .LBB1_3
; %bb.4:
	v_mov_b32_e32 v2, 0
	global_store_b64 v2, v[0:1], s[0:1]
	s_endpgm
	.section	.rodata,"a",@progbits
	.p2align	6, 0x0
	.amdhsa_kernel _Z15test_kern_largePm
		.amdhsa_group_segment_fixed_size 0
		.amdhsa_private_segment_fixed_size 16016
		.amdhsa_kernarg_size 8
		.amdhsa_user_sgpr_count 15
		.amdhsa_user_sgpr_dispatch_ptr 0
		.amdhsa_user_sgpr_queue_ptr 0
		.amdhsa_user_sgpr_kernarg_segment_ptr 1
		.amdhsa_user_sgpr_dispatch_id 0
		.amdhsa_user_sgpr_private_segment_size 0
		.amdhsa_wavefront_size32 1
		.amdhsa_uses_dynamic_stack 0
		.amdhsa_enable_private_segment 1
		.amdhsa_system_sgpr_workgroup_id_x 1
		.amdhsa_system_sgpr_workgroup_id_y 0
		.amdhsa_system_sgpr_workgroup_id_z 0
		.amdhsa_system_sgpr_workgroup_info 0
		.amdhsa_system_vgpr_workitem_id 0
		.amdhsa_next_free_vgpr 23
		.amdhsa_next_free_sgpr 8
		.amdhsa_reserve_vcc 1
		.amdhsa_float_round_mode_32 0
		.amdhsa_float_round_mode_16_64 0
		.amdhsa_float_denorm_mode_32 3
		.amdhsa_float_denorm_mode_16_64 3
		.amdhsa_dx10_clamp 1
		.amdhsa_ieee_mode 1
		.amdhsa_fp16_overflow 0
		.amdhsa_workgroup_processor_mode 1
		.amdhsa_memory_ordered 1
		.amdhsa_forward_progress 0
		.amdhsa_shared_vgpr_count 0
		.amdhsa_exception_fp_ieee_invalid_op 0
		.amdhsa_exception_fp_denorm_src 0
		.amdhsa_exception_fp_ieee_div_zero 0
		.amdhsa_exception_fp_ieee_overflow 0
		.amdhsa_exception_fp_ieee_underflow 0
		.amdhsa_exception_fp_ieee_inexact 0
		.amdhsa_exception_int_div_zero 0
	.end_amdhsa_kernel
	.text
.Lfunc_end1:
	.size	_Z15test_kern_largePm, .Lfunc_end1-_Z15test_kern_largePm
                                        ; -- End function
	.section	.AMDGPU.csdata,"",@progbits
; Kernel info:
; codeLenInByte = 692
; NumSgprs: 10
; NumVgprs: 23
; ScratchSize: 16016
; MemoryBound: 0
; FloatMode: 240
; IeeeMode: 1
; LDSByteSize: 0 bytes/workgroup (compile time only)
; SGPRBlocks: 1
; VGPRBlocks: 2
; NumSGPRsForWavesPerEU: 10
; NumVGPRsForWavesPerEU: 23
; Occupancy: 16
; WaveLimiterHint : 0
; COMPUTE_PGM_RSRC2:SCRATCH_EN: 1
; COMPUTE_PGM_RSRC2:USER_SGPR: 15
; COMPUTE_PGM_RSRC2:TRAP_HANDLER: 0
; COMPUTE_PGM_RSRC2:TGID_X_EN: 1
; COMPUTE_PGM_RSRC2:TGID_Y_EN: 0
; COMPUTE_PGM_RSRC2:TGID_Z_EN: 0
; COMPUTE_PGM_RSRC2:TIDIG_COMP_CNT: 0
	.text
	.protected	_Z16test_kern_mediumPm  ; -- Begin function _Z16test_kern_mediumPm
	.globl	_Z16test_kern_mediumPm
	.p2align	8
	.type	_Z16test_kern_mediumPm,@function
_Z16test_kern_mediumPm:                 ; @_Z16test_kern_mediumPm
; %bb.0:
	v_dual_mov_b32 v0, 0x5050505 :: v_dual_mov_b32 v7, 0
	v_mov_b32_e32 v4, 0x5050505
	s_mov_b64 s[2:3], 0xaf
	s_mov_b32 s4, 0
	s_delay_alu instid0(VALU_DEP_2)
	v_mov_b32_e32 v5, v0
	v_mov_b32_e32 v6, v0
	s_set_inst_prefetch_distance 0x1
	s_branch .LBB2_2
	.p2align	6
.LBB2_1:                                ;   in Loop: Header=BB2_2 Depth=1
	s_and_not1_b32 vcc_lo, exec_lo, s6
	s_cbranch_vccz .LBB2_4
.LBB2_2:                                ; =>This Inner Loop Header: Depth=1
	v_readfirstlane_b32 s5, v7
	s_and_b32 s6, s2, -4
	s_mov_b32 s7, s3
	s_add_i32 s8, s4, 0
	scratch_store_b96 off, v[4:6], s8
	s_add_i32 s5, s5, s4
	s_cmp_eq_u64 s[6:7], 12
	s_mov_b32 s6, -1
	s_cbranch_scc1 .LBB2_1
; %bb.3:                                ;   in Loop: Header=BB2_2 Depth=1
	v_mov_b32_e32 v1, v0
	v_mov_b32_e32 v2, v0
	;; [unrolled: 1-line block ×3, first 2 shown]
	s_add_i32 s7, s5, 12
	s_add_i32 s8, s5, 28
	s_add_u32 s2, s2, 0xffffffe0
	s_addc_u32 s3, s3, -1
	s_add_i32 s4, s4, 32
	s_mov_b32 s6, 0
	s_clause 0x1
	scratch_store_b128 off, v[0:3], s7
	scratch_store_b32 off, v0, s8
	s_branch .LBB2_1
.LBB2_4:
	s_set_inst_prefetch_distance 0x2
	v_dual_mov_b32 v0, 0 :: v_dual_mov_b32 v1, 5
	s_add_i32 s2, s5, 12
	s_add_i32 s5, s5, 14
	s_load_b64 s[0:1], s[0:1], 0x0
	scratch_store_b8 off, v1, s5
	v_mov_b32_e32 v1, 0x505
	scratch_store_b16 off, v1, s2
	scratch_load_b128 v[1:4], off, off
	s_waitcnt lgkmcnt(0)
	s_load_b64 s[2:3], s[0:1], 0x0
	s_waitcnt vmcnt(0)
	v_add_nc_u32_e32 v2, 7, v2
	v_add_nc_u32_e32 v1, 7, v1
	;; [unrolled: 1-line block ×4, first 2 shown]
	s_delay_alu instid0(VALU_DEP_4) | instskip(NEXT) | instid1(VALU_DEP_4)
	v_ashrrev_i32_e32 v7, 31, v2
	v_ashrrev_i32_e32 v5, 31, v1
	s_waitcnt lgkmcnt(0)
	v_add_co_u32 v6, vcc_lo, s2, v1
	scratch_store_b128 off, v[1:4], off
	v_ashrrev_i32_e32 v1, 31, v4
	v_add_co_ci_u32_e32 v5, vcc_lo, s3, v5, vcc_lo
	v_add_co_u32 v6, vcc_lo, v6, v2
	s_delay_alu instid0(VALU_DEP_2) | instskip(SKIP_1) | instid1(VALU_DEP_3)
	v_add_co_ci_u32_e32 v5, vcc_lo, v5, v7, vcc_lo
	v_ashrrev_i32_e32 v7, 31, v3
	v_add_co_u32 v6, vcc_lo, v6, v3
	s_delay_alu instid0(VALU_DEP_2) | instskip(NEXT) | instid1(VALU_DEP_2)
	v_add_co_ci_u32_e32 v5, vcc_lo, v5, v7, vcc_lo
	v_add_co_u32 v6, vcc_lo, v6, v4
	s_delay_alu instid0(VALU_DEP_2)
	v_add_co_ci_u32_e32 v5, vcc_lo, v5, v1, vcc_lo
	scratch_load_b128 v[1:4], off, off offset:16
	s_waitcnt vmcnt(0)
	v_add_nc_u32_e32 v1, 7, v1
	v_add_nc_u32_e32 v2, 7, v2
	v_add_nc_u32_e32 v3, 7, v3
	v_add_nc_u32_e32 v4, 7, v4
	s_delay_alu instid0(VALU_DEP_4)
	v_ashrrev_i32_e32 v7, 31, v1
	v_add_co_u32 v6, vcc_lo, v6, v1
	scratch_store_b128 off, v[1:4], off offset:16
	v_ashrrev_i32_e32 v1, 31, v4
	v_add_co_ci_u32_e32 v5, vcc_lo, v5, v7, vcc_lo
	v_ashrrev_i32_e32 v7, 31, v2
	v_add_co_u32 v6, vcc_lo, v6, v2
	s_delay_alu instid0(VALU_DEP_2) | instskip(SKIP_1) | instid1(VALU_DEP_3)
	v_add_co_ci_u32_e32 v5, vcc_lo, v5, v7, vcc_lo
	v_ashrrev_i32_e32 v7, 31, v3
	v_add_co_u32 v6, vcc_lo, v6, v3
	s_delay_alu instid0(VALU_DEP_2) | instskip(NEXT) | instid1(VALU_DEP_2)
	v_add_co_ci_u32_e32 v5, vcc_lo, v5, v7, vcc_lo
	v_add_co_u32 v6, vcc_lo, v6, v4
	s_delay_alu instid0(VALU_DEP_2)
	v_add_co_ci_u32_e32 v5, vcc_lo, v5, v1, vcc_lo
	scratch_load_b128 v[1:4], off, off offset:32
	s_waitcnt vmcnt(0)
	v_add_nc_u32_e32 v1, 7, v1
	v_add_nc_u32_e32 v2, 7, v2
	v_add_nc_u32_e32 v3, 7, v3
	v_add_nc_u32_e32 v4, 7, v4
	s_delay_alu instid0(VALU_DEP_4)
	v_ashrrev_i32_e32 v7, 31, v1
	v_add_co_u32 v6, vcc_lo, v6, v1
	scratch_store_b128 off, v[1:4], off offset:32
	v_ashrrev_i32_e32 v1, 31, v4
	v_add_co_ci_u32_e32 v5, vcc_lo, v5, v7, vcc_lo
	v_ashrrev_i32_e32 v7, 31, v2
	;; [unrolled: 23-line block ×5, first 2 shown]
	v_add_co_u32 v6, vcc_lo, v6, v2
	s_delay_alu instid0(VALU_DEP_2) | instskip(SKIP_1) | instid1(VALU_DEP_3)
	v_add_co_ci_u32_e32 v5, vcc_lo, v5, v7, vcc_lo
	v_ashrrev_i32_e32 v7, 31, v3
	v_add_co_u32 v6, vcc_lo, v6, v3
	s_delay_alu instid0(VALU_DEP_2) | instskip(NEXT) | instid1(VALU_DEP_2)
	v_add_co_ci_u32_e32 v5, vcc_lo, v5, v7, vcc_lo
	v_add_co_u32 v6, vcc_lo, v6, v4
	s_delay_alu instid0(VALU_DEP_2)
	v_add_co_ci_u32_e32 v5, vcc_lo, v5, v1, vcc_lo
	scratch_load_b128 v[1:4], off, off offset:96
	s_waitcnt vmcnt(0)
	v_add_nc_u32_e32 v1, 7, v1
	v_add_nc_u32_e32 v2, 7, v2
	;; [unrolled: 1-line block ×3, first 2 shown]
	s_delay_alu instid0(VALU_DEP_3)
	v_ashrrev_i32_e32 v7, 31, v1
	v_add_co_u32 v6, vcc_lo, v6, v1
	scratch_store_b96 off, v[1:3], off offset:96
	v_ashrrev_i32_e32 v1, 31, v3
	v_add_co_ci_u32_e32 v5, vcc_lo, v5, v7, vcc_lo
	v_ashrrev_i32_e32 v7, 31, v2
	v_add_co_u32 v6, vcc_lo, v6, v2
	s_delay_alu instid0(VALU_DEP_2) | instskip(NEXT) | instid1(VALU_DEP_2)
	v_add_co_ci_u32_e32 v5, vcc_lo, v5, v7, vcc_lo
	v_add_co_u32 v2, vcc_lo, v6, v3
	v_add_nc_u32_e32 v3, 7, v4
	s_delay_alu instid0(VALU_DEP_3) | instskip(NEXT) | instid1(VALU_DEP_2)
	v_add_co_ci_u32_e32 v1, vcc_lo, v5, v1, vcc_lo
	v_ashrrev_i32_e32 v4, 31, v3
	s_delay_alu instid0(VALU_DEP_4) | instskip(NEXT) | instid1(VALU_DEP_2)
	v_add_co_u32 v5, vcc_lo, v2, v3
	v_add_co_ci_u32_e32 v6, vcc_lo, v1, v4, vcc_lo
	scratch_load_b128 v[1:4], off, off offset:112
	s_waitcnt vmcnt(0)
	v_add_nc_u32_e32 v1, 7, v1
	v_add_nc_u32_e32 v2, 7, v2
	v_add_nc_u32_e32 v3, 7, v3
	s_delay_alu instid0(VALU_DEP_3) | instskip(SKIP_1) | instid1(VALU_DEP_2)
	v_ashrrev_i32_e32 v7, 31, v1
	v_add_co_u32 v1, vcc_lo, v5, v1
	v_add_co_ci_u32_e32 v5, vcc_lo, v6, v7, vcc_lo
	v_ashrrev_i32_e32 v6, 31, v2
	s_delay_alu instid0(VALU_DEP_3) | instskip(NEXT) | instid1(VALU_DEP_2)
	v_add_co_u32 v1, vcc_lo, v1, v2
	v_add_co_ci_u32_e32 v2, vcc_lo, v5, v6, vcc_lo
	v_ashrrev_i32_e32 v5, 31, v3
	s_delay_alu instid0(VALU_DEP_3) | instskip(SKIP_1) | instid1(VALU_DEP_3)
	v_add_co_u32 v1, vcc_lo, v1, v3
	v_add_nc_u32_e32 v3, 7, v4
	v_add_co_ci_u32_e32 v2, vcc_lo, v2, v5, vcc_lo
	s_delay_alu instid0(VALU_DEP_2) | instskip(NEXT) | instid1(VALU_DEP_4)
	v_ashrrev_i32_e32 v4, 31, v3
	v_add_co_u32 v5, vcc_lo, v1, v3
	s_delay_alu instid0(VALU_DEP_2)
	v_add_co_ci_u32_e32 v6, vcc_lo, v2, v4, vcc_lo
	scratch_load_b128 v[1:4], off, off offset:128
	s_waitcnt vmcnt(0)
	v_add_nc_u32_e32 v1, 7, v1
	v_add_nc_u32_e32 v2, 7, v2
	v_add_nc_u32_e32 v3, 7, v3
	s_delay_alu instid0(VALU_DEP_3) | instskip(SKIP_1) | instid1(VALU_DEP_2)
	v_ashrrev_i32_e32 v7, 31, v1
	v_add_co_u32 v1, vcc_lo, v5, v1
	v_add_co_ci_u32_e32 v5, vcc_lo, v6, v7, vcc_lo
	v_ashrrev_i32_e32 v6, 31, v2
	s_delay_alu instid0(VALU_DEP_3) | instskip(NEXT) | instid1(VALU_DEP_2)
	v_add_co_u32 v1, vcc_lo, v1, v2
	v_add_co_ci_u32_e32 v2, vcc_lo, v5, v6, vcc_lo
	v_ashrrev_i32_e32 v5, 31, v3
	s_delay_alu instid0(VALU_DEP_3) | instskip(SKIP_1) | instid1(VALU_DEP_3)
	v_add_co_u32 v1, vcc_lo, v1, v3
	v_add_nc_u32_e32 v3, 7, v4
	v_add_co_ci_u32_e32 v2, vcc_lo, v2, v5, vcc_lo
	s_delay_alu instid0(VALU_DEP_2) | instskip(NEXT) | instid1(VALU_DEP_4)
	v_ashrrev_i32_e32 v4, 31, v3
	v_add_co_u32 v5, vcc_lo, v1, v3
	s_delay_alu instid0(VALU_DEP_2)
	v_add_co_ci_u32_e32 v6, vcc_lo, v2, v4, vcc_lo
	scratch_load_b128 v[1:4], off, off offset:144
	s_waitcnt vmcnt(0)
	v_add_nc_u32_e32 v1, 7, v1
	v_add_nc_u32_e32 v2, 7, v2
	v_add_nc_u32_e32 v3, 7, v3
	s_delay_alu instid0(VALU_DEP_3) | instskip(SKIP_1) | instid1(VALU_DEP_2)
	v_ashrrev_i32_e32 v7, 31, v1
	v_add_co_u32 v1, vcc_lo, v5, v1
	v_add_co_ci_u32_e32 v5, vcc_lo, v6, v7, vcc_lo
	v_ashrrev_i32_e32 v6, 31, v2
	s_delay_alu instid0(VALU_DEP_3) | instskip(NEXT) | instid1(VALU_DEP_2)
	v_add_co_u32 v1, vcc_lo, v1, v2
	v_add_co_ci_u32_e32 v2, vcc_lo, v5, v6, vcc_lo
	v_ashrrev_i32_e32 v5, 31, v3
	s_delay_alu instid0(VALU_DEP_3) | instskip(SKIP_1) | instid1(VALU_DEP_3)
	v_add_co_u32 v1, vcc_lo, v1, v3
	v_add_nc_u32_e32 v3, 7, v4
	v_add_co_ci_u32_e32 v2, vcc_lo, v2, v5, vcc_lo
	s_delay_alu instid0(VALU_DEP_2) | instskip(NEXT) | instid1(VALU_DEP_4)
	v_ashrrev_i32_e32 v4, 31, v3
	v_add_co_u32 v5, vcc_lo, v1, v3
	s_delay_alu instid0(VALU_DEP_2)
	v_add_co_ci_u32_e32 v6, vcc_lo, v2, v4, vcc_lo
	scratch_load_b128 v[1:4], off, off offset:160
	s_waitcnt vmcnt(0)
	v_add_nc_u32_e32 v1, 7, v1
	v_add_nc_u32_e32 v2, 7, v2
	v_add_nc_u32_e32 v3, 7, v3
	s_delay_alu instid0(VALU_DEP_3) | instskip(SKIP_1) | instid1(VALU_DEP_2)
	v_ashrrev_i32_e32 v7, 31, v1
	v_add_co_u32 v1, vcc_lo, v5, v1
	v_add_co_ci_u32_e32 v5, vcc_lo, v6, v7, vcc_lo
	v_ashrrev_i32_e32 v6, 31, v2
	s_delay_alu instid0(VALU_DEP_3) | instskip(NEXT) | instid1(VALU_DEP_2)
	v_add_co_u32 v1, vcc_lo, v1, v2
	v_add_co_ci_u32_e32 v2, vcc_lo, v5, v6, vcc_lo
	v_ashrrev_i32_e32 v5, 31, v3
	s_delay_alu instid0(VALU_DEP_3) | instskip(SKIP_1) | instid1(VALU_DEP_3)
	v_add_co_u32 v1, vcc_lo, v1, v3
	v_add_nc_u32_e32 v3, 7, v4
	v_add_co_ci_u32_e32 v2, vcc_lo, v2, v5, vcc_lo
	s_delay_alu instid0(VALU_DEP_2) | instskip(NEXT) | instid1(VALU_DEP_4)
	v_ashrrev_i32_e32 v4, 31, v3
	v_add_co_u32 v5, vcc_lo, v1, v3
	s_delay_alu instid0(VALU_DEP_2)
	v_add_co_ci_u32_e32 v6, vcc_lo, v2, v4, vcc_lo
	scratch_load_b128 v[1:4], off, off offset:176
	s_waitcnt vmcnt(0)
	v_add_nc_u32_e32 v1, 7, v1
	v_add_nc_u32_e32 v2, 7, v2
	v_add_nc_u32_e32 v3, 7, v3
	s_delay_alu instid0(VALU_DEP_3) | instskip(SKIP_1) | instid1(VALU_DEP_2)
	v_ashrrev_i32_e32 v7, 31, v1
	v_add_co_u32 v1, vcc_lo, v5, v1
	v_add_co_ci_u32_e32 v5, vcc_lo, v6, v7, vcc_lo
	v_ashrrev_i32_e32 v6, 31, v2
	s_delay_alu instid0(VALU_DEP_3) | instskip(NEXT) | instid1(VALU_DEP_2)
	v_add_co_u32 v1, vcc_lo, v1, v2
	v_add_co_ci_u32_e32 v2, vcc_lo, v5, v6, vcc_lo
	v_ashrrev_i32_e32 v5, 31, v3
	s_delay_alu instid0(VALU_DEP_3) | instskip(SKIP_1) | instid1(VALU_DEP_3)
	v_add_co_u32 v1, vcc_lo, v1, v3
	v_add_nc_u32_e32 v3, 7, v4
	v_add_co_ci_u32_e32 v2, vcc_lo, v2, v5, vcc_lo
	s_delay_alu instid0(VALU_DEP_2) | instskip(NEXT) | instid1(VALU_DEP_4)
	v_ashrrev_i32_e32 v4, 31, v3
	v_add_co_u32 v5, vcc_lo, v1, v3
	s_delay_alu instid0(VALU_DEP_2)
	v_add_co_ci_u32_e32 v6, vcc_lo, v2, v4, vcc_lo
	scratch_load_b128 v[1:4], off, off offset:192
	s_waitcnt vmcnt(0)
	v_add_nc_u32_e32 v1, 7, v1
	v_add_nc_u32_e32 v2, 7, v2
	v_add_nc_u32_e32 v3, 7, v3
	s_delay_alu instid0(VALU_DEP_3) | instskip(SKIP_1) | instid1(VALU_DEP_2)
	v_ashrrev_i32_e32 v7, 31, v1
	v_add_co_u32 v1, vcc_lo, v5, v1
	v_add_co_ci_u32_e32 v5, vcc_lo, v6, v7, vcc_lo
	v_ashrrev_i32_e32 v6, 31, v2
	s_delay_alu instid0(VALU_DEP_3) | instskip(NEXT) | instid1(VALU_DEP_2)
	v_add_co_u32 v1, vcc_lo, v1, v2
	v_add_co_ci_u32_e32 v2, vcc_lo, v5, v6, vcc_lo
	v_ashrrev_i32_e32 v5, 31, v3
	s_delay_alu instid0(VALU_DEP_3) | instskip(SKIP_1) | instid1(VALU_DEP_3)
	v_add_co_u32 v1, vcc_lo, v1, v3
	v_add_nc_u32_e32 v3, 7, v4
	v_add_co_ci_u32_e32 v2, vcc_lo, v2, v5, vcc_lo
	s_delay_alu instid0(VALU_DEP_2) | instskip(NEXT) | instid1(VALU_DEP_4)
	v_ashrrev_i32_e32 v4, 31, v3
	v_add_co_u32 v5, vcc_lo, v1, v3
	s_delay_alu instid0(VALU_DEP_2)
	v_add_co_ci_u32_e32 v6, vcc_lo, v2, v4, vcc_lo
	scratch_load_b128 v[1:4], off, off offset:208
	s_waitcnt vmcnt(0)
	v_add_nc_u32_e32 v1, 7, v1
	v_add_nc_u32_e32 v2, 7, v2
	v_add_nc_u32_e32 v3, 7, v3
	s_delay_alu instid0(VALU_DEP_3) | instskip(SKIP_1) | instid1(VALU_DEP_2)
	v_ashrrev_i32_e32 v7, 31, v1
	v_add_co_u32 v1, vcc_lo, v5, v1
	v_add_co_ci_u32_e32 v5, vcc_lo, v6, v7, vcc_lo
	v_ashrrev_i32_e32 v6, 31, v2
	s_delay_alu instid0(VALU_DEP_3) | instskip(NEXT) | instid1(VALU_DEP_2)
	v_add_co_u32 v1, vcc_lo, v1, v2
	v_add_co_ci_u32_e32 v2, vcc_lo, v5, v6, vcc_lo
	v_ashrrev_i32_e32 v5, 31, v3
	s_delay_alu instid0(VALU_DEP_3) | instskip(SKIP_1) | instid1(VALU_DEP_3)
	v_add_co_u32 v1, vcc_lo, v1, v3
	v_add_nc_u32_e32 v3, 7, v4
	v_add_co_ci_u32_e32 v2, vcc_lo, v2, v5, vcc_lo
	s_delay_alu instid0(VALU_DEP_2) | instskip(NEXT) | instid1(VALU_DEP_4)
	v_ashrrev_i32_e32 v4, 31, v3
	v_add_co_u32 v5, vcc_lo, v1, v3
	s_delay_alu instid0(VALU_DEP_2)
	v_add_co_ci_u32_e32 v6, vcc_lo, v2, v4, vcc_lo
	scratch_load_b128 v[1:4], off, off offset:224
	s_waitcnt vmcnt(0)
	v_add_nc_u32_e32 v1, 7, v1
	v_add_nc_u32_e32 v2, 7, v2
	v_add_nc_u32_e32 v3, 7, v3
	s_delay_alu instid0(VALU_DEP_3) | instskip(SKIP_1) | instid1(VALU_DEP_2)
	v_ashrrev_i32_e32 v7, 31, v1
	v_add_co_u32 v1, vcc_lo, v5, v1
	v_add_co_ci_u32_e32 v5, vcc_lo, v6, v7, vcc_lo
	v_ashrrev_i32_e32 v6, 31, v2
	s_delay_alu instid0(VALU_DEP_3) | instskip(NEXT) | instid1(VALU_DEP_2)
	v_add_co_u32 v1, vcc_lo, v1, v2
	v_add_co_ci_u32_e32 v2, vcc_lo, v5, v6, vcc_lo
	v_ashrrev_i32_e32 v5, 31, v3
	s_delay_alu instid0(VALU_DEP_3) | instskip(SKIP_1) | instid1(VALU_DEP_3)
	v_add_co_u32 v1, vcc_lo, v1, v3
	v_add_nc_u32_e32 v3, 7, v4
	v_add_co_ci_u32_e32 v2, vcc_lo, v2, v5, vcc_lo
	s_delay_alu instid0(VALU_DEP_2) | instskip(NEXT) | instid1(VALU_DEP_4)
	v_ashrrev_i32_e32 v4, 31, v3
	v_add_co_u32 v5, vcc_lo, v1, v3
	s_delay_alu instid0(VALU_DEP_2)
	v_add_co_ci_u32_e32 v6, vcc_lo, v2, v4, vcc_lo
	scratch_load_b128 v[1:4], off, off offset:240
	s_waitcnt vmcnt(0)
	v_add_nc_u32_e32 v1, 7, v1
	v_add_nc_u32_e32 v2, 7, v2
	v_add_nc_u32_e32 v3, 7, v3
	s_delay_alu instid0(VALU_DEP_3) | instskip(SKIP_1) | instid1(VALU_DEP_2)
	v_ashrrev_i32_e32 v7, 31, v1
	v_add_co_u32 v1, vcc_lo, v5, v1
	v_add_co_ci_u32_e32 v5, vcc_lo, v6, v7, vcc_lo
	v_ashrrev_i32_e32 v6, 31, v2
	s_delay_alu instid0(VALU_DEP_3) | instskip(NEXT) | instid1(VALU_DEP_2)
	v_add_co_u32 v1, vcc_lo, v1, v2
	v_add_co_ci_u32_e32 v2, vcc_lo, v5, v6, vcc_lo
	v_ashrrev_i32_e32 v5, 31, v3
	s_delay_alu instid0(VALU_DEP_3) | instskip(SKIP_1) | instid1(VALU_DEP_3)
	v_add_co_u32 v1, vcc_lo, v1, v3
	v_add_nc_u32_e32 v3, 7, v4
	v_add_co_ci_u32_e32 v2, vcc_lo, v2, v5, vcc_lo
	s_delay_alu instid0(VALU_DEP_2) | instskip(NEXT) | instid1(VALU_DEP_4)
	v_ashrrev_i32_e32 v4, 31, v3
	v_add_co_u32 v5, vcc_lo, v1, v3
	s_delay_alu instid0(VALU_DEP_2)
	v_add_co_ci_u32_e32 v6, vcc_lo, v2, v4, vcc_lo
	scratch_load_b128 v[1:4], off, off offset:256
	s_waitcnt vmcnt(0)
	v_add_nc_u32_e32 v1, 7, v1
	v_add_nc_u32_e32 v2, 7, v2
	v_add_nc_u32_e32 v3, 7, v3
	s_delay_alu instid0(VALU_DEP_3) | instskip(SKIP_1) | instid1(VALU_DEP_2)
	v_ashrrev_i32_e32 v7, 31, v1
	v_add_co_u32 v1, vcc_lo, v5, v1
	v_add_co_ci_u32_e32 v5, vcc_lo, v6, v7, vcc_lo
	v_ashrrev_i32_e32 v6, 31, v2
	s_delay_alu instid0(VALU_DEP_3) | instskip(NEXT) | instid1(VALU_DEP_2)
	v_add_co_u32 v1, vcc_lo, v1, v2
	v_add_co_ci_u32_e32 v2, vcc_lo, v5, v6, vcc_lo
	v_ashrrev_i32_e32 v5, 31, v3
	s_delay_alu instid0(VALU_DEP_3) | instskip(SKIP_1) | instid1(VALU_DEP_3)
	v_add_co_u32 v1, vcc_lo, v1, v3
	v_add_nc_u32_e32 v3, 7, v4
	v_add_co_ci_u32_e32 v2, vcc_lo, v2, v5, vcc_lo
	s_delay_alu instid0(VALU_DEP_2) | instskip(NEXT) | instid1(VALU_DEP_4)
	v_ashrrev_i32_e32 v4, 31, v3
	v_add_co_u32 v5, vcc_lo, v1, v3
	s_delay_alu instid0(VALU_DEP_2)
	v_add_co_ci_u32_e32 v6, vcc_lo, v2, v4, vcc_lo
	scratch_load_b128 v[1:4], off, off offset:272
	s_waitcnt vmcnt(0)
	v_add_nc_u32_e32 v1, 7, v1
	v_add_nc_u32_e32 v2, 7, v2
	v_add_nc_u32_e32 v3, 7, v3
	s_delay_alu instid0(VALU_DEP_3) | instskip(SKIP_1) | instid1(VALU_DEP_2)
	v_ashrrev_i32_e32 v7, 31, v1
	v_add_co_u32 v1, vcc_lo, v5, v1
	v_add_co_ci_u32_e32 v5, vcc_lo, v6, v7, vcc_lo
	v_ashrrev_i32_e32 v6, 31, v2
	s_delay_alu instid0(VALU_DEP_3) | instskip(NEXT) | instid1(VALU_DEP_2)
	v_add_co_u32 v1, vcc_lo, v1, v2
	v_add_co_ci_u32_e32 v2, vcc_lo, v5, v6, vcc_lo
	v_ashrrev_i32_e32 v5, 31, v3
	s_delay_alu instid0(VALU_DEP_3) | instskip(SKIP_1) | instid1(VALU_DEP_3)
	v_add_co_u32 v1, vcc_lo, v1, v3
	v_add_nc_u32_e32 v3, 7, v4
	v_add_co_ci_u32_e32 v2, vcc_lo, v2, v5, vcc_lo
	s_delay_alu instid0(VALU_DEP_2) | instskip(NEXT) | instid1(VALU_DEP_4)
	v_ashrrev_i32_e32 v4, 31, v3
	v_add_co_u32 v5, vcc_lo, v1, v3
	s_delay_alu instid0(VALU_DEP_2)
	v_add_co_ci_u32_e32 v6, vcc_lo, v2, v4, vcc_lo
	scratch_load_b128 v[1:4], off, off offset:288
	s_waitcnt vmcnt(0)
	v_add_nc_u32_e32 v1, 7, v1
	v_add_nc_u32_e32 v2, 7, v2
	v_add_nc_u32_e32 v3, 7, v3
	s_delay_alu instid0(VALU_DEP_3) | instskip(SKIP_1) | instid1(VALU_DEP_2)
	v_ashrrev_i32_e32 v7, 31, v1
	v_add_co_u32 v1, vcc_lo, v5, v1
	v_add_co_ci_u32_e32 v5, vcc_lo, v6, v7, vcc_lo
	v_ashrrev_i32_e32 v6, 31, v2
	s_delay_alu instid0(VALU_DEP_3) | instskip(NEXT) | instid1(VALU_DEP_2)
	v_add_co_u32 v1, vcc_lo, v1, v2
	v_add_co_ci_u32_e32 v2, vcc_lo, v5, v6, vcc_lo
	v_ashrrev_i32_e32 v5, 31, v3
	s_delay_alu instid0(VALU_DEP_3) | instskip(SKIP_1) | instid1(VALU_DEP_3)
	v_add_co_u32 v1, vcc_lo, v1, v3
	v_add_nc_u32_e32 v3, 7, v4
	v_add_co_ci_u32_e32 v2, vcc_lo, v2, v5, vcc_lo
	s_delay_alu instid0(VALU_DEP_2) | instskip(NEXT) | instid1(VALU_DEP_4)
	v_ashrrev_i32_e32 v4, 31, v3
	v_add_co_u32 v5, vcc_lo, v1, v3
	s_delay_alu instid0(VALU_DEP_2)
	v_add_co_ci_u32_e32 v6, vcc_lo, v2, v4, vcc_lo
	scratch_load_b128 v[1:4], off, off offset:304
	s_waitcnt vmcnt(0)
	v_add_nc_u32_e32 v1, 7, v1
	v_add_nc_u32_e32 v2, 7, v2
	v_add_nc_u32_e32 v3, 7, v3
	s_delay_alu instid0(VALU_DEP_3) | instskip(SKIP_1) | instid1(VALU_DEP_2)
	v_ashrrev_i32_e32 v7, 31, v1
	v_add_co_u32 v1, vcc_lo, v5, v1
	v_add_co_ci_u32_e32 v5, vcc_lo, v6, v7, vcc_lo
	v_ashrrev_i32_e32 v6, 31, v2
	s_delay_alu instid0(VALU_DEP_3) | instskip(NEXT) | instid1(VALU_DEP_2)
	v_add_co_u32 v1, vcc_lo, v1, v2
	v_add_co_ci_u32_e32 v2, vcc_lo, v5, v6, vcc_lo
	v_ashrrev_i32_e32 v5, 31, v3
	s_delay_alu instid0(VALU_DEP_3) | instskip(SKIP_1) | instid1(VALU_DEP_3)
	v_add_co_u32 v1, vcc_lo, v1, v3
	v_add_nc_u32_e32 v3, 7, v4
	v_add_co_ci_u32_e32 v2, vcc_lo, v2, v5, vcc_lo
	s_delay_alu instid0(VALU_DEP_2) | instskip(NEXT) | instid1(VALU_DEP_4)
	v_ashrrev_i32_e32 v4, 31, v3
	v_add_co_u32 v5, vcc_lo, v1, v3
	s_delay_alu instid0(VALU_DEP_2)
	v_add_co_ci_u32_e32 v6, vcc_lo, v2, v4, vcc_lo
	scratch_load_b128 v[1:4], off, off offset:320
	s_waitcnt vmcnt(0)
	v_add_nc_u32_e32 v1, 7, v1
	v_add_nc_u32_e32 v2, 7, v2
	v_add_nc_u32_e32 v3, 7, v3
	s_delay_alu instid0(VALU_DEP_3) | instskip(SKIP_1) | instid1(VALU_DEP_2)
	v_ashrrev_i32_e32 v7, 31, v1
	v_add_co_u32 v1, vcc_lo, v5, v1
	v_add_co_ci_u32_e32 v5, vcc_lo, v6, v7, vcc_lo
	v_ashrrev_i32_e32 v6, 31, v2
	s_delay_alu instid0(VALU_DEP_3) | instskip(NEXT) | instid1(VALU_DEP_2)
	v_add_co_u32 v1, vcc_lo, v1, v2
	v_add_co_ci_u32_e32 v2, vcc_lo, v5, v6, vcc_lo
	v_ashrrev_i32_e32 v5, 31, v3
	s_delay_alu instid0(VALU_DEP_3) | instskip(SKIP_1) | instid1(VALU_DEP_3)
	v_add_co_u32 v1, vcc_lo, v1, v3
	v_add_nc_u32_e32 v3, 7, v4
	v_add_co_ci_u32_e32 v2, vcc_lo, v2, v5, vcc_lo
	s_delay_alu instid0(VALU_DEP_2) | instskip(NEXT) | instid1(VALU_DEP_4)
	v_ashrrev_i32_e32 v4, 31, v3
	v_add_co_u32 v5, vcc_lo, v1, v3
	s_delay_alu instid0(VALU_DEP_2)
	v_add_co_ci_u32_e32 v6, vcc_lo, v2, v4, vcc_lo
	scratch_load_b128 v[1:4], off, off offset:336
	s_waitcnt vmcnt(0)
	v_add_nc_u32_e32 v1, 7, v1
	v_add_nc_u32_e32 v2, 7, v2
	v_add_nc_u32_e32 v3, 7, v3
	s_delay_alu instid0(VALU_DEP_3) | instskip(SKIP_1) | instid1(VALU_DEP_2)
	v_ashrrev_i32_e32 v7, 31, v1
	v_add_co_u32 v1, vcc_lo, v5, v1
	v_add_co_ci_u32_e32 v5, vcc_lo, v6, v7, vcc_lo
	v_ashrrev_i32_e32 v6, 31, v2
	s_delay_alu instid0(VALU_DEP_3) | instskip(NEXT) | instid1(VALU_DEP_2)
	v_add_co_u32 v1, vcc_lo, v1, v2
	v_add_co_ci_u32_e32 v2, vcc_lo, v5, v6, vcc_lo
	v_ashrrev_i32_e32 v5, 31, v3
	s_delay_alu instid0(VALU_DEP_3) | instskip(SKIP_1) | instid1(VALU_DEP_3)
	v_add_co_u32 v1, vcc_lo, v1, v3
	v_add_nc_u32_e32 v3, 7, v4
	v_add_co_ci_u32_e32 v2, vcc_lo, v2, v5, vcc_lo
	s_delay_alu instid0(VALU_DEP_2) | instskip(NEXT) | instid1(VALU_DEP_4)
	v_ashrrev_i32_e32 v4, 31, v3
	v_add_co_u32 v5, vcc_lo, v1, v3
	s_delay_alu instid0(VALU_DEP_2)
	v_add_co_ci_u32_e32 v6, vcc_lo, v2, v4, vcc_lo
	scratch_load_b128 v[1:4], off, off offset:352
	s_waitcnt vmcnt(0)
	v_add_nc_u32_e32 v1, 7, v1
	v_add_nc_u32_e32 v2, 7, v2
	v_add_nc_u32_e32 v3, 7, v3
	s_delay_alu instid0(VALU_DEP_3) | instskip(SKIP_1) | instid1(VALU_DEP_2)
	v_ashrrev_i32_e32 v7, 31, v1
	v_add_co_u32 v1, vcc_lo, v5, v1
	v_add_co_ci_u32_e32 v5, vcc_lo, v6, v7, vcc_lo
	v_ashrrev_i32_e32 v6, 31, v2
	s_delay_alu instid0(VALU_DEP_3) | instskip(NEXT) | instid1(VALU_DEP_2)
	v_add_co_u32 v1, vcc_lo, v1, v2
	v_add_co_ci_u32_e32 v2, vcc_lo, v5, v6, vcc_lo
	v_ashrrev_i32_e32 v5, 31, v3
	s_delay_alu instid0(VALU_DEP_3) | instskip(SKIP_1) | instid1(VALU_DEP_3)
	v_add_co_u32 v1, vcc_lo, v1, v3
	v_add_nc_u32_e32 v3, 7, v4
	v_add_co_ci_u32_e32 v2, vcc_lo, v2, v5, vcc_lo
	s_delay_alu instid0(VALU_DEP_2) | instskip(NEXT) | instid1(VALU_DEP_4)
	v_ashrrev_i32_e32 v4, 31, v3
	v_add_co_u32 v5, vcc_lo, v1, v3
	s_delay_alu instid0(VALU_DEP_2)
	v_add_co_ci_u32_e32 v6, vcc_lo, v2, v4, vcc_lo
	scratch_load_b128 v[1:4], off, off offset:368
	s_waitcnt vmcnt(0)
	v_add_nc_u32_e32 v1, 7, v1
	v_add_nc_u32_e32 v2, 7, v2
	v_add_nc_u32_e32 v3, 7, v3
	s_delay_alu instid0(VALU_DEP_3) | instskip(SKIP_1) | instid1(VALU_DEP_2)
	v_ashrrev_i32_e32 v7, 31, v1
	v_add_co_u32 v1, vcc_lo, v5, v1
	v_add_co_ci_u32_e32 v5, vcc_lo, v6, v7, vcc_lo
	v_ashrrev_i32_e32 v6, 31, v2
	s_delay_alu instid0(VALU_DEP_3) | instskip(NEXT) | instid1(VALU_DEP_2)
	v_add_co_u32 v1, vcc_lo, v1, v2
	v_add_co_ci_u32_e32 v2, vcc_lo, v5, v6, vcc_lo
	v_ashrrev_i32_e32 v5, 31, v3
	s_delay_alu instid0(VALU_DEP_3) | instskip(SKIP_1) | instid1(VALU_DEP_3)
	v_add_co_u32 v1, vcc_lo, v1, v3
	v_add_nc_u32_e32 v3, 7, v4
	v_add_co_ci_u32_e32 v2, vcc_lo, v2, v5, vcc_lo
	s_delay_alu instid0(VALU_DEP_2) | instskip(NEXT) | instid1(VALU_DEP_4)
	v_ashrrev_i32_e32 v4, 31, v3
	v_add_co_u32 v5, vcc_lo, v1, v3
	s_delay_alu instid0(VALU_DEP_2)
	v_add_co_ci_u32_e32 v6, vcc_lo, v2, v4, vcc_lo
	scratch_load_b128 v[1:4], off, off offset:384
	s_waitcnt vmcnt(0)
	v_add_nc_u32_e32 v1, 7, v1
	v_add_nc_u32_e32 v2, 7, v2
	v_add_nc_u32_e32 v3, 7, v3
	s_delay_alu instid0(VALU_DEP_3) | instskip(SKIP_1) | instid1(VALU_DEP_2)
	v_ashrrev_i32_e32 v7, 31, v1
	v_add_co_u32 v1, vcc_lo, v5, v1
	v_add_co_ci_u32_e32 v5, vcc_lo, v6, v7, vcc_lo
	v_ashrrev_i32_e32 v6, 31, v2
	s_delay_alu instid0(VALU_DEP_3) | instskip(NEXT) | instid1(VALU_DEP_2)
	v_add_co_u32 v1, vcc_lo, v1, v2
	v_add_co_ci_u32_e32 v2, vcc_lo, v5, v6, vcc_lo
	v_ashrrev_i32_e32 v5, 31, v3
	s_delay_alu instid0(VALU_DEP_3) | instskip(SKIP_1) | instid1(VALU_DEP_3)
	v_add_co_u32 v1, vcc_lo, v1, v3
	v_add_nc_u32_e32 v3, 7, v4
	v_add_co_ci_u32_e32 v2, vcc_lo, v2, v5, vcc_lo
	s_delay_alu instid0(VALU_DEP_2) | instskip(NEXT) | instid1(VALU_DEP_4)
	v_ashrrev_i32_e32 v4, 31, v3
	v_add_co_u32 v5, vcc_lo, v1, v3
	s_delay_alu instid0(VALU_DEP_2)
	v_add_co_ci_u32_e32 v6, vcc_lo, v2, v4, vcc_lo
	scratch_load_b128 v[1:4], off, off offset:400
	s_waitcnt vmcnt(0)
	v_add_nc_u32_e32 v1, 7, v1
	v_add_nc_u32_e32 v2, 7, v2
	v_add_nc_u32_e32 v3, 7, v3
	s_delay_alu instid0(VALU_DEP_3) | instskip(SKIP_1) | instid1(VALU_DEP_2)
	v_ashrrev_i32_e32 v7, 31, v1
	v_add_co_u32 v1, vcc_lo, v5, v1
	v_add_co_ci_u32_e32 v5, vcc_lo, v6, v7, vcc_lo
	v_ashrrev_i32_e32 v6, 31, v2
	s_delay_alu instid0(VALU_DEP_3) | instskip(NEXT) | instid1(VALU_DEP_2)
	v_add_co_u32 v1, vcc_lo, v1, v2
	v_add_co_ci_u32_e32 v2, vcc_lo, v5, v6, vcc_lo
	v_ashrrev_i32_e32 v5, 31, v3
	s_delay_alu instid0(VALU_DEP_3) | instskip(SKIP_1) | instid1(VALU_DEP_3)
	v_add_co_u32 v1, vcc_lo, v1, v3
	v_add_nc_u32_e32 v3, 7, v4
	v_add_co_ci_u32_e32 v2, vcc_lo, v2, v5, vcc_lo
	s_delay_alu instid0(VALU_DEP_2) | instskip(NEXT) | instid1(VALU_DEP_4)
	v_ashrrev_i32_e32 v4, 31, v3
	v_add_co_u32 v5, vcc_lo, v1, v3
	s_delay_alu instid0(VALU_DEP_2)
	v_add_co_ci_u32_e32 v6, vcc_lo, v2, v4, vcc_lo
	scratch_load_b128 v[1:4], off, off offset:416
	s_waitcnt vmcnt(0)
	v_add_nc_u32_e32 v1, 7, v1
	v_add_nc_u32_e32 v2, 7, v2
	v_add_nc_u32_e32 v3, 7, v3
	s_delay_alu instid0(VALU_DEP_3) | instskip(SKIP_1) | instid1(VALU_DEP_2)
	v_ashrrev_i32_e32 v7, 31, v1
	v_add_co_u32 v1, vcc_lo, v5, v1
	v_add_co_ci_u32_e32 v5, vcc_lo, v6, v7, vcc_lo
	v_ashrrev_i32_e32 v6, 31, v2
	s_delay_alu instid0(VALU_DEP_3) | instskip(NEXT) | instid1(VALU_DEP_2)
	v_add_co_u32 v1, vcc_lo, v1, v2
	v_add_co_ci_u32_e32 v2, vcc_lo, v5, v6, vcc_lo
	v_ashrrev_i32_e32 v5, 31, v3
	s_delay_alu instid0(VALU_DEP_3) | instskip(SKIP_1) | instid1(VALU_DEP_3)
	v_add_co_u32 v1, vcc_lo, v1, v3
	v_add_nc_u32_e32 v3, 7, v4
	v_add_co_ci_u32_e32 v2, vcc_lo, v2, v5, vcc_lo
	s_delay_alu instid0(VALU_DEP_2) | instskip(NEXT) | instid1(VALU_DEP_4)
	v_ashrrev_i32_e32 v4, 31, v3
	v_add_co_u32 v5, vcc_lo, v1, v3
	s_delay_alu instid0(VALU_DEP_2)
	v_add_co_ci_u32_e32 v6, vcc_lo, v2, v4, vcc_lo
	scratch_load_b128 v[1:4], off, off offset:432
	s_waitcnt vmcnt(0)
	v_add_nc_u32_e32 v1, 7, v1
	v_add_nc_u32_e32 v2, 7, v2
	v_add_nc_u32_e32 v3, 7, v3
	s_delay_alu instid0(VALU_DEP_3) | instskip(SKIP_1) | instid1(VALU_DEP_2)
	v_ashrrev_i32_e32 v7, 31, v1
	v_add_co_u32 v1, vcc_lo, v5, v1
	v_add_co_ci_u32_e32 v5, vcc_lo, v6, v7, vcc_lo
	v_ashrrev_i32_e32 v6, 31, v2
	s_delay_alu instid0(VALU_DEP_3) | instskip(NEXT) | instid1(VALU_DEP_2)
	v_add_co_u32 v1, vcc_lo, v1, v2
	v_add_co_ci_u32_e32 v2, vcc_lo, v5, v6, vcc_lo
	v_ashrrev_i32_e32 v5, 31, v3
	s_delay_alu instid0(VALU_DEP_3) | instskip(SKIP_1) | instid1(VALU_DEP_3)
	v_add_co_u32 v1, vcc_lo, v1, v3
	v_add_nc_u32_e32 v3, 7, v4
	v_add_co_ci_u32_e32 v2, vcc_lo, v2, v5, vcc_lo
	s_delay_alu instid0(VALU_DEP_2) | instskip(NEXT) | instid1(VALU_DEP_4)
	v_ashrrev_i32_e32 v4, 31, v3
	v_add_co_u32 v5, vcc_lo, v1, v3
	s_delay_alu instid0(VALU_DEP_2)
	v_add_co_ci_u32_e32 v6, vcc_lo, v2, v4, vcc_lo
	scratch_load_b128 v[1:4], off, off offset:448
	s_waitcnt vmcnt(0)
	v_add_nc_u32_e32 v1, 7, v1
	v_add_nc_u32_e32 v2, 7, v2
	v_add_nc_u32_e32 v3, 7, v3
	s_delay_alu instid0(VALU_DEP_3) | instskip(SKIP_1) | instid1(VALU_DEP_2)
	v_ashrrev_i32_e32 v7, 31, v1
	v_add_co_u32 v1, vcc_lo, v5, v1
	v_add_co_ci_u32_e32 v5, vcc_lo, v6, v7, vcc_lo
	v_ashrrev_i32_e32 v6, 31, v2
	s_delay_alu instid0(VALU_DEP_3) | instskip(NEXT) | instid1(VALU_DEP_2)
	v_add_co_u32 v1, vcc_lo, v1, v2
	v_add_co_ci_u32_e32 v2, vcc_lo, v5, v6, vcc_lo
	v_ashrrev_i32_e32 v5, 31, v3
	s_delay_alu instid0(VALU_DEP_3) | instskip(SKIP_1) | instid1(VALU_DEP_3)
	v_add_co_u32 v1, vcc_lo, v1, v3
	v_add_nc_u32_e32 v3, 7, v4
	v_add_co_ci_u32_e32 v2, vcc_lo, v2, v5, vcc_lo
	s_delay_alu instid0(VALU_DEP_2) | instskip(NEXT) | instid1(VALU_DEP_4)
	v_ashrrev_i32_e32 v4, 31, v3
	v_add_co_u32 v5, vcc_lo, v1, v3
	s_delay_alu instid0(VALU_DEP_2)
	v_add_co_ci_u32_e32 v6, vcc_lo, v2, v4, vcc_lo
	scratch_load_b128 v[1:4], off, off offset:464
	s_waitcnt vmcnt(0)
	v_add_nc_u32_e32 v1, 7, v1
	v_add_nc_u32_e32 v2, 7, v2
	v_add_nc_u32_e32 v3, 7, v3
	s_delay_alu instid0(VALU_DEP_3) | instskip(SKIP_1) | instid1(VALU_DEP_2)
	v_ashrrev_i32_e32 v7, 31, v1
	v_add_co_u32 v1, vcc_lo, v5, v1
	v_add_co_ci_u32_e32 v5, vcc_lo, v6, v7, vcc_lo
	v_ashrrev_i32_e32 v6, 31, v2
	s_delay_alu instid0(VALU_DEP_3) | instskip(NEXT) | instid1(VALU_DEP_2)
	v_add_co_u32 v1, vcc_lo, v1, v2
	v_add_co_ci_u32_e32 v2, vcc_lo, v5, v6, vcc_lo
	v_ashrrev_i32_e32 v5, 31, v3
	s_delay_alu instid0(VALU_DEP_3) | instskip(SKIP_1) | instid1(VALU_DEP_3)
	v_add_co_u32 v1, vcc_lo, v1, v3
	v_add_nc_u32_e32 v3, 7, v4
	v_add_co_ci_u32_e32 v2, vcc_lo, v2, v5, vcc_lo
	s_delay_alu instid0(VALU_DEP_2) | instskip(NEXT) | instid1(VALU_DEP_4)
	v_ashrrev_i32_e32 v4, 31, v3
	v_add_co_u32 v5, vcc_lo, v1, v3
	s_delay_alu instid0(VALU_DEP_2)
	v_add_co_ci_u32_e32 v6, vcc_lo, v2, v4, vcc_lo
	scratch_load_b128 v[1:4], off, off offset:480
	s_waitcnt vmcnt(0)
	v_add_nc_u32_e32 v1, 7, v1
	v_add_nc_u32_e32 v2, 7, v2
	v_add_nc_u32_e32 v3, 7, v3
	s_delay_alu instid0(VALU_DEP_3) | instskip(SKIP_1) | instid1(VALU_DEP_2)
	v_ashrrev_i32_e32 v7, 31, v1
	v_add_co_u32 v1, vcc_lo, v5, v1
	v_add_co_ci_u32_e32 v5, vcc_lo, v6, v7, vcc_lo
	v_ashrrev_i32_e32 v6, 31, v2
	s_delay_alu instid0(VALU_DEP_3) | instskip(NEXT) | instid1(VALU_DEP_2)
	v_add_co_u32 v1, vcc_lo, v1, v2
	v_add_co_ci_u32_e32 v2, vcc_lo, v5, v6, vcc_lo
	v_ashrrev_i32_e32 v5, 31, v3
	s_delay_alu instid0(VALU_DEP_3) | instskip(SKIP_1) | instid1(VALU_DEP_3)
	v_add_co_u32 v1, vcc_lo, v1, v3
	v_add_nc_u32_e32 v3, 7, v4
	v_add_co_ci_u32_e32 v2, vcc_lo, v2, v5, vcc_lo
	s_delay_alu instid0(VALU_DEP_2) | instskip(NEXT) | instid1(VALU_DEP_4)
	v_ashrrev_i32_e32 v4, 31, v3
	v_add_co_u32 v5, vcc_lo, v1, v3
	s_delay_alu instid0(VALU_DEP_2)
	v_add_co_ci_u32_e32 v6, vcc_lo, v2, v4, vcc_lo
	scratch_load_b128 v[1:4], off, off offset:496
	s_waitcnt vmcnt(0)
	v_add_nc_u32_e32 v1, 7, v1
	v_add_nc_u32_e32 v2, 7, v2
	v_add_nc_u32_e32 v3, 7, v3
	s_delay_alu instid0(VALU_DEP_3) | instskip(SKIP_1) | instid1(VALU_DEP_2)
	v_ashrrev_i32_e32 v7, 31, v1
	v_add_co_u32 v1, vcc_lo, v5, v1
	v_add_co_ci_u32_e32 v5, vcc_lo, v6, v7, vcc_lo
	v_ashrrev_i32_e32 v6, 31, v2
	s_delay_alu instid0(VALU_DEP_3) | instskip(NEXT) | instid1(VALU_DEP_2)
	v_add_co_u32 v1, vcc_lo, v1, v2
	v_add_co_ci_u32_e32 v2, vcc_lo, v5, v6, vcc_lo
	v_ashrrev_i32_e32 v5, 31, v3
	s_delay_alu instid0(VALU_DEP_3) | instskip(SKIP_1) | instid1(VALU_DEP_3)
	v_add_co_u32 v1, vcc_lo, v1, v3
	v_add_nc_u32_e32 v3, 7, v4
	v_add_co_ci_u32_e32 v2, vcc_lo, v2, v5, vcc_lo
	s_delay_alu instid0(VALU_DEP_2) | instskip(NEXT) | instid1(VALU_DEP_4)
	v_ashrrev_i32_e32 v4, 31, v3
	v_add_co_u32 v5, vcc_lo, v1, v3
	s_delay_alu instid0(VALU_DEP_2)
	v_add_co_ci_u32_e32 v6, vcc_lo, v2, v4, vcc_lo
	scratch_load_b128 v[1:4], off, off offset:512
	s_waitcnt vmcnt(0)
	v_add_nc_u32_e32 v1, 7, v1
	v_add_nc_u32_e32 v2, 7, v2
	v_add_nc_u32_e32 v3, 7, v3
	s_delay_alu instid0(VALU_DEP_3) | instskip(SKIP_1) | instid1(VALU_DEP_2)
	v_ashrrev_i32_e32 v7, 31, v1
	v_add_co_u32 v1, vcc_lo, v5, v1
	v_add_co_ci_u32_e32 v5, vcc_lo, v6, v7, vcc_lo
	v_ashrrev_i32_e32 v6, 31, v2
	s_delay_alu instid0(VALU_DEP_3) | instskip(NEXT) | instid1(VALU_DEP_2)
	v_add_co_u32 v1, vcc_lo, v1, v2
	v_add_co_ci_u32_e32 v2, vcc_lo, v5, v6, vcc_lo
	v_ashrrev_i32_e32 v5, 31, v3
	s_delay_alu instid0(VALU_DEP_3) | instskip(SKIP_1) | instid1(VALU_DEP_3)
	v_add_co_u32 v1, vcc_lo, v1, v3
	v_add_nc_u32_e32 v3, 7, v4
	v_add_co_ci_u32_e32 v2, vcc_lo, v2, v5, vcc_lo
	s_delay_alu instid0(VALU_DEP_2) | instskip(NEXT) | instid1(VALU_DEP_4)
	v_ashrrev_i32_e32 v4, 31, v3
	v_add_co_u32 v5, vcc_lo, v1, v3
	s_delay_alu instid0(VALU_DEP_2)
	v_add_co_ci_u32_e32 v6, vcc_lo, v2, v4, vcc_lo
	scratch_load_b128 v[1:4], off, off offset:528
	s_waitcnt vmcnt(0)
	v_add_nc_u32_e32 v1, 7, v1
	v_add_nc_u32_e32 v2, 7, v2
	v_add_nc_u32_e32 v3, 7, v3
	s_delay_alu instid0(VALU_DEP_3) | instskip(SKIP_1) | instid1(VALU_DEP_2)
	v_ashrrev_i32_e32 v7, 31, v1
	v_add_co_u32 v1, vcc_lo, v5, v1
	v_add_co_ci_u32_e32 v5, vcc_lo, v6, v7, vcc_lo
	v_ashrrev_i32_e32 v6, 31, v2
	s_delay_alu instid0(VALU_DEP_3) | instskip(NEXT) | instid1(VALU_DEP_2)
	v_add_co_u32 v1, vcc_lo, v1, v2
	v_add_co_ci_u32_e32 v2, vcc_lo, v5, v6, vcc_lo
	v_ashrrev_i32_e32 v5, 31, v3
	s_delay_alu instid0(VALU_DEP_3) | instskip(SKIP_1) | instid1(VALU_DEP_3)
	v_add_co_u32 v1, vcc_lo, v1, v3
	v_add_nc_u32_e32 v3, 7, v4
	v_add_co_ci_u32_e32 v2, vcc_lo, v2, v5, vcc_lo
	s_delay_alu instid0(VALU_DEP_2) | instskip(NEXT) | instid1(VALU_DEP_4)
	v_ashrrev_i32_e32 v4, 31, v3
	v_add_co_u32 v5, vcc_lo, v1, v3
	s_delay_alu instid0(VALU_DEP_2)
	v_add_co_ci_u32_e32 v6, vcc_lo, v2, v4, vcc_lo
	scratch_load_b128 v[1:4], off, off offset:544
	s_waitcnt vmcnt(0)
	v_add_nc_u32_e32 v1, 7, v1
	v_add_nc_u32_e32 v2, 7, v2
	v_add_nc_u32_e32 v3, 7, v3
	s_delay_alu instid0(VALU_DEP_3) | instskip(SKIP_1) | instid1(VALU_DEP_2)
	v_ashrrev_i32_e32 v7, 31, v1
	v_add_co_u32 v1, vcc_lo, v5, v1
	v_add_co_ci_u32_e32 v5, vcc_lo, v6, v7, vcc_lo
	v_ashrrev_i32_e32 v6, 31, v2
	s_delay_alu instid0(VALU_DEP_3) | instskip(NEXT) | instid1(VALU_DEP_2)
	v_add_co_u32 v1, vcc_lo, v1, v2
	v_add_co_ci_u32_e32 v2, vcc_lo, v5, v6, vcc_lo
	v_ashrrev_i32_e32 v5, 31, v3
	s_delay_alu instid0(VALU_DEP_3) | instskip(SKIP_1) | instid1(VALU_DEP_3)
	v_add_co_u32 v1, vcc_lo, v1, v3
	v_add_nc_u32_e32 v3, 7, v4
	v_add_co_ci_u32_e32 v2, vcc_lo, v2, v5, vcc_lo
	s_delay_alu instid0(VALU_DEP_2) | instskip(NEXT) | instid1(VALU_DEP_4)
	v_ashrrev_i32_e32 v4, 31, v3
	v_add_co_u32 v5, vcc_lo, v1, v3
	s_delay_alu instid0(VALU_DEP_2)
	v_add_co_ci_u32_e32 v6, vcc_lo, v2, v4, vcc_lo
	scratch_load_b128 v[1:4], off, off offset:560
	s_waitcnt vmcnt(0)
	v_add_nc_u32_e32 v1, 7, v1
	v_add_nc_u32_e32 v2, 7, v2
	v_add_nc_u32_e32 v3, 7, v3
	s_delay_alu instid0(VALU_DEP_3) | instskip(SKIP_1) | instid1(VALU_DEP_2)
	v_ashrrev_i32_e32 v7, 31, v1
	v_add_co_u32 v1, vcc_lo, v5, v1
	v_add_co_ci_u32_e32 v5, vcc_lo, v6, v7, vcc_lo
	v_ashrrev_i32_e32 v6, 31, v2
	s_delay_alu instid0(VALU_DEP_3) | instskip(NEXT) | instid1(VALU_DEP_2)
	v_add_co_u32 v1, vcc_lo, v1, v2
	v_add_co_ci_u32_e32 v2, vcc_lo, v5, v6, vcc_lo
	v_ashrrev_i32_e32 v5, 31, v3
	s_delay_alu instid0(VALU_DEP_3) | instskip(SKIP_1) | instid1(VALU_DEP_3)
	v_add_co_u32 v1, vcc_lo, v1, v3
	v_add_nc_u32_e32 v3, 7, v4
	v_add_co_ci_u32_e32 v2, vcc_lo, v2, v5, vcc_lo
	s_delay_alu instid0(VALU_DEP_2) | instskip(NEXT) | instid1(VALU_DEP_4)
	v_ashrrev_i32_e32 v4, 31, v3
	v_add_co_u32 v5, vcc_lo, v1, v3
	s_delay_alu instid0(VALU_DEP_2)
	v_add_co_ci_u32_e32 v6, vcc_lo, v2, v4, vcc_lo
	scratch_load_b128 v[1:4], off, off offset:576
	s_waitcnt vmcnt(0)
	v_add_nc_u32_e32 v1, 7, v1
	v_add_nc_u32_e32 v2, 7, v2
	v_add_nc_u32_e32 v3, 7, v3
	s_delay_alu instid0(VALU_DEP_3) | instskip(SKIP_1) | instid1(VALU_DEP_2)
	v_ashrrev_i32_e32 v7, 31, v1
	v_add_co_u32 v1, vcc_lo, v5, v1
	v_add_co_ci_u32_e32 v5, vcc_lo, v6, v7, vcc_lo
	v_ashrrev_i32_e32 v6, 31, v2
	s_delay_alu instid0(VALU_DEP_3) | instskip(NEXT) | instid1(VALU_DEP_2)
	v_add_co_u32 v1, vcc_lo, v1, v2
	v_add_co_ci_u32_e32 v2, vcc_lo, v5, v6, vcc_lo
	v_ashrrev_i32_e32 v5, 31, v3
	s_delay_alu instid0(VALU_DEP_3) | instskip(SKIP_1) | instid1(VALU_DEP_3)
	v_add_co_u32 v1, vcc_lo, v1, v3
	v_add_nc_u32_e32 v3, 7, v4
	v_add_co_ci_u32_e32 v2, vcc_lo, v2, v5, vcc_lo
	s_delay_alu instid0(VALU_DEP_2) | instskip(NEXT) | instid1(VALU_DEP_4)
	v_ashrrev_i32_e32 v4, 31, v3
	v_add_co_u32 v5, vcc_lo, v1, v3
	s_delay_alu instid0(VALU_DEP_2)
	v_add_co_ci_u32_e32 v6, vcc_lo, v2, v4, vcc_lo
	scratch_load_b128 v[1:4], off, off offset:592
	s_waitcnt vmcnt(0)
	v_add_nc_u32_e32 v1, 7, v1
	v_add_nc_u32_e32 v2, 7, v2
	v_add_nc_u32_e32 v3, 7, v3
	s_delay_alu instid0(VALU_DEP_3) | instskip(SKIP_1) | instid1(VALU_DEP_2)
	v_ashrrev_i32_e32 v7, 31, v1
	v_add_co_u32 v1, vcc_lo, v5, v1
	v_add_co_ci_u32_e32 v5, vcc_lo, v6, v7, vcc_lo
	v_ashrrev_i32_e32 v6, 31, v2
	s_delay_alu instid0(VALU_DEP_3) | instskip(NEXT) | instid1(VALU_DEP_2)
	v_add_co_u32 v1, vcc_lo, v1, v2
	v_add_co_ci_u32_e32 v2, vcc_lo, v5, v6, vcc_lo
	v_ashrrev_i32_e32 v5, 31, v3
	s_delay_alu instid0(VALU_DEP_3) | instskip(SKIP_1) | instid1(VALU_DEP_3)
	v_add_co_u32 v1, vcc_lo, v1, v3
	v_add_nc_u32_e32 v3, 7, v4
	v_add_co_ci_u32_e32 v2, vcc_lo, v2, v5, vcc_lo
	s_delay_alu instid0(VALU_DEP_2) | instskip(NEXT) | instid1(VALU_DEP_4)
	v_ashrrev_i32_e32 v4, 31, v3
	v_add_co_u32 v5, vcc_lo, v1, v3
	s_delay_alu instid0(VALU_DEP_2)
	v_add_co_ci_u32_e32 v6, vcc_lo, v2, v4, vcc_lo
	scratch_load_b128 v[1:4], off, off offset:608
	s_waitcnt vmcnt(0)
	v_add_nc_u32_e32 v1, 7, v1
	v_add_nc_u32_e32 v2, 7, v2
	v_add_nc_u32_e32 v3, 7, v3
	s_delay_alu instid0(VALU_DEP_3) | instskip(SKIP_1) | instid1(VALU_DEP_2)
	v_ashrrev_i32_e32 v7, 31, v1
	v_add_co_u32 v1, vcc_lo, v5, v1
	v_add_co_ci_u32_e32 v5, vcc_lo, v6, v7, vcc_lo
	v_ashrrev_i32_e32 v6, 31, v2
	s_delay_alu instid0(VALU_DEP_3) | instskip(NEXT) | instid1(VALU_DEP_2)
	v_add_co_u32 v1, vcc_lo, v1, v2
	v_add_co_ci_u32_e32 v2, vcc_lo, v5, v6, vcc_lo
	v_ashrrev_i32_e32 v5, 31, v3
	s_delay_alu instid0(VALU_DEP_3) | instskip(SKIP_1) | instid1(VALU_DEP_3)
	v_add_co_u32 v1, vcc_lo, v1, v3
	v_add_nc_u32_e32 v3, 7, v4
	v_add_co_ci_u32_e32 v2, vcc_lo, v2, v5, vcc_lo
	s_delay_alu instid0(VALU_DEP_2) | instskip(NEXT) | instid1(VALU_DEP_4)
	v_ashrrev_i32_e32 v4, 31, v3
	v_add_co_u32 v5, vcc_lo, v1, v3
	s_delay_alu instid0(VALU_DEP_2)
	v_add_co_ci_u32_e32 v6, vcc_lo, v2, v4, vcc_lo
	scratch_load_b128 v[1:4], off, off offset:624
	s_waitcnt vmcnt(0)
	v_add_nc_u32_e32 v1, 7, v1
	v_add_nc_u32_e32 v2, 7, v2
	v_add_nc_u32_e32 v3, 7, v3
	s_delay_alu instid0(VALU_DEP_3) | instskip(SKIP_1) | instid1(VALU_DEP_2)
	v_ashrrev_i32_e32 v7, 31, v1
	v_add_co_u32 v1, vcc_lo, v5, v1
	v_add_co_ci_u32_e32 v5, vcc_lo, v6, v7, vcc_lo
	v_ashrrev_i32_e32 v6, 31, v2
	s_delay_alu instid0(VALU_DEP_3) | instskip(NEXT) | instid1(VALU_DEP_2)
	v_add_co_u32 v1, vcc_lo, v1, v2
	v_add_co_ci_u32_e32 v2, vcc_lo, v5, v6, vcc_lo
	v_ashrrev_i32_e32 v5, 31, v3
	s_delay_alu instid0(VALU_DEP_3) | instskip(SKIP_1) | instid1(VALU_DEP_3)
	v_add_co_u32 v1, vcc_lo, v1, v3
	v_add_nc_u32_e32 v3, 7, v4
	v_add_co_ci_u32_e32 v2, vcc_lo, v2, v5, vcc_lo
	s_delay_alu instid0(VALU_DEP_2) | instskip(NEXT) | instid1(VALU_DEP_4)
	v_ashrrev_i32_e32 v4, 31, v3
	v_add_co_u32 v5, vcc_lo, v1, v3
	s_delay_alu instid0(VALU_DEP_2)
	v_add_co_ci_u32_e32 v6, vcc_lo, v2, v4, vcc_lo
	scratch_load_b128 v[1:4], off, off offset:640
	s_waitcnt vmcnt(0)
	v_add_nc_u32_e32 v1, 7, v1
	v_add_nc_u32_e32 v2, 7, v2
	v_add_nc_u32_e32 v3, 7, v3
	s_delay_alu instid0(VALU_DEP_3) | instskip(SKIP_1) | instid1(VALU_DEP_2)
	v_ashrrev_i32_e32 v7, 31, v1
	v_add_co_u32 v1, vcc_lo, v5, v1
	v_add_co_ci_u32_e32 v5, vcc_lo, v6, v7, vcc_lo
	v_ashrrev_i32_e32 v6, 31, v2
	s_delay_alu instid0(VALU_DEP_3) | instskip(NEXT) | instid1(VALU_DEP_2)
	v_add_co_u32 v1, vcc_lo, v1, v2
	v_add_co_ci_u32_e32 v2, vcc_lo, v5, v6, vcc_lo
	v_ashrrev_i32_e32 v5, 31, v3
	s_delay_alu instid0(VALU_DEP_3) | instskip(SKIP_1) | instid1(VALU_DEP_3)
	v_add_co_u32 v1, vcc_lo, v1, v3
	v_add_nc_u32_e32 v3, 7, v4
	v_add_co_ci_u32_e32 v2, vcc_lo, v2, v5, vcc_lo
	s_delay_alu instid0(VALU_DEP_2) | instskip(NEXT) | instid1(VALU_DEP_4)
	v_ashrrev_i32_e32 v4, 31, v3
	v_add_co_u32 v5, vcc_lo, v1, v3
	s_delay_alu instid0(VALU_DEP_2)
	v_add_co_ci_u32_e32 v6, vcc_lo, v2, v4, vcc_lo
	scratch_load_b128 v[1:4], off, off offset:656
	s_waitcnt vmcnt(0)
	v_add_nc_u32_e32 v1, 7, v1
	v_add_nc_u32_e32 v2, 7, v2
	v_add_nc_u32_e32 v3, 7, v3
	s_delay_alu instid0(VALU_DEP_3) | instskip(SKIP_1) | instid1(VALU_DEP_2)
	v_ashrrev_i32_e32 v7, 31, v1
	v_add_co_u32 v1, vcc_lo, v5, v1
	v_add_co_ci_u32_e32 v5, vcc_lo, v6, v7, vcc_lo
	v_ashrrev_i32_e32 v6, 31, v2
	s_delay_alu instid0(VALU_DEP_3) | instskip(NEXT) | instid1(VALU_DEP_2)
	v_add_co_u32 v1, vcc_lo, v1, v2
	v_add_co_ci_u32_e32 v2, vcc_lo, v5, v6, vcc_lo
	v_ashrrev_i32_e32 v5, 31, v3
	s_delay_alu instid0(VALU_DEP_3) | instskip(SKIP_1) | instid1(VALU_DEP_3)
	v_add_co_u32 v1, vcc_lo, v1, v3
	v_add_nc_u32_e32 v3, 7, v4
	v_add_co_ci_u32_e32 v2, vcc_lo, v2, v5, vcc_lo
	s_delay_alu instid0(VALU_DEP_2) | instskip(NEXT) | instid1(VALU_DEP_4)
	v_ashrrev_i32_e32 v4, 31, v3
	v_add_co_u32 v5, vcc_lo, v1, v3
	s_delay_alu instid0(VALU_DEP_2)
	v_add_co_ci_u32_e32 v6, vcc_lo, v2, v4, vcc_lo
	scratch_load_b128 v[1:4], off, off offset:672
	s_waitcnt vmcnt(0)
	v_add_nc_u32_e32 v1, 7, v1
	v_add_nc_u32_e32 v2, 7, v2
	v_add_nc_u32_e32 v3, 7, v3
	s_delay_alu instid0(VALU_DEP_3) | instskip(SKIP_1) | instid1(VALU_DEP_2)
	v_ashrrev_i32_e32 v7, 31, v1
	v_add_co_u32 v1, vcc_lo, v5, v1
	v_add_co_ci_u32_e32 v5, vcc_lo, v6, v7, vcc_lo
	v_ashrrev_i32_e32 v6, 31, v2
	s_delay_alu instid0(VALU_DEP_3) | instskip(NEXT) | instid1(VALU_DEP_2)
	v_add_co_u32 v1, vcc_lo, v1, v2
	v_add_co_ci_u32_e32 v2, vcc_lo, v5, v6, vcc_lo
	v_ashrrev_i32_e32 v5, 31, v3
	s_delay_alu instid0(VALU_DEP_3) | instskip(SKIP_1) | instid1(VALU_DEP_3)
	v_add_co_u32 v1, vcc_lo, v1, v3
	v_add_nc_u32_e32 v3, 7, v4
	v_add_co_ci_u32_e32 v2, vcc_lo, v2, v5, vcc_lo
	s_delay_alu instid0(VALU_DEP_2) | instskip(NEXT) | instid1(VALU_DEP_4)
	v_ashrrev_i32_e32 v4, 31, v3
	v_add_co_u32 v5, vcc_lo, v1, v3
	s_delay_alu instid0(VALU_DEP_2)
	v_add_co_ci_u32_e32 v4, vcc_lo, v2, v4, vcc_lo
	scratch_load_b96 v[1:3], off, off offset:688
	s_waitcnt vmcnt(0)
	v_add_nc_u32_e32 v1, 7, v1
	v_add_nc_u32_e32 v2, 7, v2
	;; [unrolled: 1-line block ×3, first 2 shown]
	s_delay_alu instid0(VALU_DEP_3) | instskip(SKIP_1) | instid1(VALU_DEP_4)
	v_ashrrev_i32_e32 v6, 31, v1
	v_add_co_u32 v1, vcc_lo, v5, v1
	v_ashrrev_i32_e32 v5, 31, v2
	s_delay_alu instid0(VALU_DEP_3) | instskip(NEXT) | instid1(VALU_DEP_3)
	v_add_co_ci_u32_e32 v4, vcc_lo, v4, v6, vcc_lo
	v_add_co_u32 v1, vcc_lo, v1, v2
	s_delay_alu instid0(VALU_DEP_2) | instskip(SKIP_1) | instid1(VALU_DEP_3)
	v_add_co_ci_u32_e32 v2, vcc_lo, v4, v5, vcc_lo
	v_ashrrev_i32_e32 v4, 31, v3
	v_add_co_u32 v1, vcc_lo, v1, v3
	s_delay_alu instid0(VALU_DEP_2)
	v_add_co_ci_u32_e32 v2, vcc_lo, v2, v4, vcc_lo
	global_store_b64 v0, v[1:2], s[0:1]
	s_endpgm
	.section	.rodata,"a",@progbits
	.p2align	6, 0x0
	.amdhsa_kernel _Z16test_kern_mediumPm
		.amdhsa_group_segment_fixed_size 0
		.amdhsa_private_segment_fixed_size 704
		.amdhsa_kernarg_size 8
		.amdhsa_user_sgpr_count 15
		.amdhsa_user_sgpr_dispatch_ptr 0
		.amdhsa_user_sgpr_queue_ptr 0
		.amdhsa_user_sgpr_kernarg_segment_ptr 1
		.amdhsa_user_sgpr_dispatch_id 0
		.amdhsa_user_sgpr_private_segment_size 0
		.amdhsa_wavefront_size32 1
		.amdhsa_uses_dynamic_stack 0
		.amdhsa_enable_private_segment 1
		.amdhsa_system_sgpr_workgroup_id_x 1
		.amdhsa_system_sgpr_workgroup_id_y 0
		.amdhsa_system_sgpr_workgroup_id_z 0
		.amdhsa_system_sgpr_workgroup_info 0
		.amdhsa_system_vgpr_workitem_id 0
		.amdhsa_next_free_vgpr 8
		.amdhsa_next_free_sgpr 9
		.amdhsa_reserve_vcc 1
		.amdhsa_float_round_mode_32 0
		.amdhsa_float_round_mode_16_64 0
		.amdhsa_float_denorm_mode_32 3
		.amdhsa_float_denorm_mode_16_64 3
		.amdhsa_dx10_clamp 1
		.amdhsa_ieee_mode 1
		.amdhsa_fp16_overflow 0
		.amdhsa_workgroup_processor_mode 1
		.amdhsa_memory_ordered 1
		.amdhsa_forward_progress 0
		.amdhsa_shared_vgpr_count 0
		.amdhsa_exception_fp_ieee_invalid_op 0
		.amdhsa_exception_fp_denorm_src 0
		.amdhsa_exception_fp_ieee_div_zero 0
		.amdhsa_exception_fp_ieee_overflow 0
		.amdhsa_exception_fp_ieee_underflow 0
		.amdhsa_exception_fp_ieee_inexact 0
		.amdhsa_exception_int_div_zero 0
	.end_amdhsa_kernel
	.text
.Lfunc_end2:
	.size	_Z16test_kern_mediumPm, .Lfunc_end2-_Z16test_kern_mediumPm
                                        ; -- End function
	.section	.AMDGPU.csdata,"",@progbits
; Kernel info:
; codeLenInByte = 5176
; NumSgprs: 11
; NumVgprs: 8
; ScratchSize: 704
; MemoryBound: 0
; FloatMode: 240
; IeeeMode: 1
; LDSByteSize: 0 bytes/workgroup (compile time only)
; SGPRBlocks: 1
; VGPRBlocks: 0
; NumSGPRsForWavesPerEU: 11
; NumVGPRsForWavesPerEU: 8
; Occupancy: 16
; WaveLimiterHint : 0
; COMPUTE_PGM_RSRC2:SCRATCH_EN: 1
; COMPUTE_PGM_RSRC2:USER_SGPR: 15
; COMPUTE_PGM_RSRC2:TRAP_HANDLER: 0
; COMPUTE_PGM_RSRC2:TGID_X_EN: 1
; COMPUTE_PGM_RSRC2:TGID_Y_EN: 0
; COMPUTE_PGM_RSRC2:TGID_Z_EN: 0
; COMPUTE_PGM_RSRC2:TIDIG_COMP_CNT: 0
	.text
	.protected	_Z15test_kern_smallPm   ; -- Begin function _Z15test_kern_smallPm
	.globl	_Z15test_kern_smallPm
	.p2align	8
	.type	_Z15test_kern_smallPm,@function
_Z15test_kern_smallPm:                  ; @_Z15test_kern_smallPm
; %bb.0:
	s_endpgm
	.section	.rodata,"a",@progbits
	.p2align	6, 0x0
	.amdhsa_kernel _Z15test_kern_smallPm
		.amdhsa_group_segment_fixed_size 0
		.amdhsa_private_segment_fixed_size 0
		.amdhsa_kernarg_size 8
		.amdhsa_user_sgpr_count 15
		.amdhsa_user_sgpr_dispatch_ptr 0
		.amdhsa_user_sgpr_queue_ptr 0
		.amdhsa_user_sgpr_kernarg_segment_ptr 1
		.amdhsa_user_sgpr_dispatch_id 0
		.amdhsa_user_sgpr_private_segment_size 0
		.amdhsa_wavefront_size32 1
		.amdhsa_uses_dynamic_stack 0
		.amdhsa_enable_private_segment 0
		.amdhsa_system_sgpr_workgroup_id_x 1
		.amdhsa_system_sgpr_workgroup_id_y 0
		.amdhsa_system_sgpr_workgroup_id_z 0
		.amdhsa_system_sgpr_workgroup_info 0
		.amdhsa_system_vgpr_workitem_id 0
		.amdhsa_next_free_vgpr 1
		.amdhsa_next_free_sgpr 1
		.amdhsa_reserve_vcc 0
		.amdhsa_float_round_mode_32 0
		.amdhsa_float_round_mode_16_64 0
		.amdhsa_float_denorm_mode_32 3
		.amdhsa_float_denorm_mode_16_64 3
		.amdhsa_dx10_clamp 1
		.amdhsa_ieee_mode 1
		.amdhsa_fp16_overflow 0
		.amdhsa_workgroup_processor_mode 1
		.amdhsa_memory_ordered 1
		.amdhsa_forward_progress 0
		.amdhsa_shared_vgpr_count 0
		.amdhsa_exception_fp_ieee_invalid_op 0
		.amdhsa_exception_fp_denorm_src 0
		.amdhsa_exception_fp_ieee_div_zero 0
		.amdhsa_exception_fp_ieee_overflow 0
		.amdhsa_exception_fp_ieee_underflow 0
		.amdhsa_exception_fp_ieee_inexact 0
		.amdhsa_exception_int_div_zero 0
	.end_amdhsa_kernel
	.text
.Lfunc_end3:
	.size	_Z15test_kern_smallPm, .Lfunc_end3-_Z15test_kern_smallPm
                                        ; -- End function
	.section	.AMDGPU.csdata,"",@progbits
; Kernel info:
; codeLenInByte = 4
; NumSgprs: 0
; NumVgprs: 0
; ScratchSize: 0
; MemoryBound: 0
; FloatMode: 240
; IeeeMode: 1
; LDSByteSize: 0 bytes/workgroup (compile time only)
; SGPRBlocks: 0
; VGPRBlocks: 0
; NumSGPRsForWavesPerEU: 1
; NumVGPRsForWavesPerEU: 1
; Occupancy: 16
; WaveLimiterHint : 0
; COMPUTE_PGM_RSRC2:SCRATCH_EN: 0
; COMPUTE_PGM_RSRC2:USER_SGPR: 15
; COMPUTE_PGM_RSRC2:TRAP_HANDLER: 0
; COMPUTE_PGM_RSRC2:TGID_X_EN: 1
; COMPUTE_PGM_RSRC2:TGID_Y_EN: 0
; COMPUTE_PGM_RSRC2:TGID_Z_EN: 0
; COMPUTE_PGM_RSRC2:TIDIG_COMP_CNT: 0
	.section	.text._Z17test_page_migrateImEvPT_S0_,"axG",@progbits,_Z17test_page_migrateImEvPT_S0_,comdat
	.protected	_Z17test_page_migrateImEvPT_S0_ ; -- Begin function _Z17test_page_migrateImEvPT_S0_
	.globl	_Z17test_page_migrateImEvPT_S0_
	.p2align	8
	.type	_Z17test_page_migrateImEvPT_S0_,@function
_Z17test_page_migrateImEvPT_S0_:        ; @_Z17test_page_migrateImEvPT_S0_
; %bb.0:
	s_clause 0x1
	s_load_b32 s4, s[0:1], 0x1c
	s_load_b128 s[0:3], s[0:1], 0x0
	s_waitcnt lgkmcnt(0)
	s_and_b32 s4, s4, 0xffff
	s_delay_alu instid0(SALU_CYCLE_1) | instskip(NEXT) | instid1(VALU_DEP_1)
	v_mad_u64_u32 v[1:2], null, s15, s4, v[0:1]
	v_ashrrev_i32_e32 v2, 31, v1
	s_delay_alu instid0(VALU_DEP_1) | instskip(NEXT) | instid1(VALU_DEP_1)
	v_lshlrev_b64 v[0:1], 3, v[1:2]
	v_add_co_u32 v0, vcc_lo, s0, v0
	s_delay_alu instid0(VALU_DEP_2)
	v_add_co_ci_u32_e32 v1, vcc_lo, s1, v1, vcc_lo
	global_load_b64 v[2:3], v[0:1], off
	s_waitcnt vmcnt(0)
	v_add_co_u32 v2, vcc_lo, v2, s2
	v_add_co_ci_u32_e32 v3, vcc_lo, s3, v3, vcc_lo
	global_store_b64 v[0:1], v[2:3], off
	s_nop 0
	s_sendmsg sendmsg(MSG_DEALLOC_VGPRS)
	s_endpgm
	.section	.rodata,"a",@progbits
	.p2align	6, 0x0
	.amdhsa_kernel _Z17test_page_migrateImEvPT_S0_
		.amdhsa_group_segment_fixed_size 0
		.amdhsa_private_segment_fixed_size 0
		.amdhsa_kernarg_size 272
		.amdhsa_user_sgpr_count 15
		.amdhsa_user_sgpr_dispatch_ptr 0
		.amdhsa_user_sgpr_queue_ptr 0
		.amdhsa_user_sgpr_kernarg_segment_ptr 1
		.amdhsa_user_sgpr_dispatch_id 0
		.amdhsa_user_sgpr_private_segment_size 0
		.amdhsa_wavefront_size32 1
		.amdhsa_uses_dynamic_stack 0
		.amdhsa_enable_private_segment 0
		.amdhsa_system_sgpr_workgroup_id_x 1
		.amdhsa_system_sgpr_workgroup_id_y 0
		.amdhsa_system_sgpr_workgroup_id_z 0
		.amdhsa_system_sgpr_workgroup_info 0
		.amdhsa_system_vgpr_workitem_id 0
		.amdhsa_next_free_vgpr 4
		.amdhsa_next_free_sgpr 16
		.amdhsa_reserve_vcc 1
		.amdhsa_float_round_mode_32 0
		.amdhsa_float_round_mode_16_64 0
		.amdhsa_float_denorm_mode_32 3
		.amdhsa_float_denorm_mode_16_64 3
		.amdhsa_dx10_clamp 1
		.amdhsa_ieee_mode 1
		.amdhsa_fp16_overflow 0
		.amdhsa_workgroup_processor_mode 1
		.amdhsa_memory_ordered 1
		.amdhsa_forward_progress 0
		.amdhsa_shared_vgpr_count 0
		.amdhsa_exception_fp_ieee_invalid_op 0
		.amdhsa_exception_fp_denorm_src 0
		.amdhsa_exception_fp_ieee_div_zero 0
		.amdhsa_exception_fp_ieee_overflow 0
		.amdhsa_exception_fp_ieee_underflow 0
		.amdhsa_exception_fp_ieee_inexact 0
		.amdhsa_exception_int_div_zero 0
	.end_amdhsa_kernel
	.section	.text._Z17test_page_migrateImEvPT_S0_,"axG",@progbits,_Z17test_page_migrateImEvPT_S0_,comdat
.Lfunc_end4:
	.size	_Z17test_page_migrateImEvPT_S0_, .Lfunc_end4-_Z17test_page_migrateImEvPT_S0_
                                        ; -- End function
	.section	.AMDGPU.csdata,"",@progbits
; Kernel info:
; codeLenInByte = 120
; NumSgprs: 18
; NumVgprs: 4
; ScratchSize: 0
; MemoryBound: 0
; FloatMode: 240
; IeeeMode: 1
; LDSByteSize: 0 bytes/workgroup (compile time only)
; SGPRBlocks: 2
; VGPRBlocks: 0
; NumSGPRsForWavesPerEU: 18
; NumVGPRsForWavesPerEU: 4
; Occupancy: 16
; WaveLimiterHint : 0
; COMPUTE_PGM_RSRC2:SCRATCH_EN: 0
; COMPUTE_PGM_RSRC2:USER_SGPR: 15
; COMPUTE_PGM_RSRC2:TRAP_HANDLER: 0
; COMPUTE_PGM_RSRC2:TGID_X_EN: 1
; COMPUTE_PGM_RSRC2:TGID_Y_EN: 0
; COMPUTE_PGM_RSRC2:TGID_Z_EN: 0
; COMPUTE_PGM_RSRC2:TIDIG_COMP_CNT: 0
	.text
	.p2alignl 7, 3214868480
	.fill 96, 4, 3214868480
	.type	__hip_cuid_28ce098b5a2fa87d,@object ; @__hip_cuid_28ce098b5a2fa87d
	.section	.bss,"aw",@nobits
	.globl	__hip_cuid_28ce098b5a2fa87d
__hip_cuid_28ce098b5a2fa87d:
	.byte	0                               ; 0x0
	.size	__hip_cuid_28ce098b5a2fa87d, 1

	.ident	"AMD clang version 19.0.0git (https://github.com/RadeonOpenCompute/llvm-project roc-6.4.0 25133 c7fe45cf4b819c5991fe208aaa96edf142730f1d)"
	.section	".note.GNU-stack","",@progbits
	.addrsig
	.addrsig_sym __hip_cuid_28ce098b5a2fa87d
	.amdgpu_metadata
---
amdhsa.kernels:
  - .args:
      - .address_space:  global
        .offset:         0
        .size:           8
        .value_kind:     global_buffer
      - .address_space:  global
        .offset:         8
        .size:           8
        .value_kind:     global_buffer
      - .offset:         16
        .size:           4
        .value_kind:     by_value
      - .offset:         20
        .size:           4
        .value_kind:     by_value
      - .offset:         24
        .size:           4
        .value_kind:     hidden_block_count_x
      - .offset:         28
        .size:           4
        .value_kind:     hidden_block_count_y
      - .offset:         32
        .size:           4
        .value_kind:     hidden_block_count_z
      - .offset:         36
        .size:           2
        .value_kind:     hidden_group_size_x
      - .offset:         38
        .size:           2
        .value_kind:     hidden_group_size_y
      - .offset:         40
        .size:           2
        .value_kind:     hidden_group_size_z
      - .offset:         42
        .size:           2
        .value_kind:     hidden_remainder_x
      - .offset:         44
        .size:           2
        .value_kind:     hidden_remainder_y
      - .offset:         46
        .size:           2
        .value_kind:     hidden_remainder_z
      - .offset:         64
        .size:           8
        .value_kind:     hidden_global_offset_x
      - .offset:         72
        .size:           8
        .value_kind:     hidden_global_offset_y
      - .offset:         80
        .size:           8
        .value_kind:     hidden_global_offset_z
      - .offset:         88
        .size:           2
        .value_kind:     hidden_grid_dims
    .group_segment_fixed_size: 4096
    .kernarg_segment_align: 8
    .kernarg_segment_size: 280
    .language:       OpenCL C
    .language_version:
      - 2
      - 0
    .max_flat_workgroup_size: 1024
    .name:           _Z9transposePKiPiii
    .private_segment_fixed_size: 0
    .sgpr_count:     18
    .sgpr_spill_count: 0
    .symbol:         _Z9transposePKiPiii.kd
    .uniform_work_group_size: 1
    .uses_dynamic_stack: false
    .vgpr_count:     6
    .vgpr_spill_count: 0
    .wavefront_size: 32
    .workgroup_processor_mode: 1
  - .args:
      - .address_space:  global
        .offset:         0
        .size:           8
        .value_kind:     global_buffer
    .group_segment_fixed_size: 0
    .kernarg_segment_align: 8
    .kernarg_segment_size: 8
    .language:       OpenCL C
    .language_version:
      - 2
      - 0
    .max_flat_workgroup_size: 1024
    .name:           _Z15test_kern_largePm
    .private_segment_fixed_size: 16016
    .sgpr_count:     10
    .sgpr_spill_count: 0
    .symbol:         _Z15test_kern_largePm.kd
    .uniform_work_group_size: 1
    .uses_dynamic_stack: false
    .vgpr_count:     23
    .vgpr_spill_count: 0
    .wavefront_size: 32
    .workgroup_processor_mode: 1
  - .args:
      - .address_space:  global
        .offset:         0
        .size:           8
        .value_kind:     global_buffer
    .group_segment_fixed_size: 0
    .kernarg_segment_align: 8
    .kernarg_segment_size: 8
    .language:       OpenCL C
    .language_version:
      - 2
      - 0
    .max_flat_workgroup_size: 1024
    .name:           _Z16test_kern_mediumPm
    .private_segment_fixed_size: 704
    .sgpr_count:     11
    .sgpr_spill_count: 0
    .symbol:         _Z16test_kern_mediumPm.kd
    .uniform_work_group_size: 1
    .uses_dynamic_stack: false
    .vgpr_count:     8
    .vgpr_spill_count: 0
    .wavefront_size: 32
    .workgroup_processor_mode: 1
  - .args:
      - .address_space:  global
        .offset:         0
        .size:           8
        .value_kind:     global_buffer
    .group_segment_fixed_size: 0
    .kernarg_segment_align: 8
    .kernarg_segment_size: 8
    .language:       OpenCL C
    .language_version:
      - 2
      - 0
    .max_flat_workgroup_size: 1024
    .name:           _Z15test_kern_smallPm
    .private_segment_fixed_size: 0
    .sgpr_count:     0
    .sgpr_spill_count: 0
    .symbol:         _Z15test_kern_smallPm.kd
    .uniform_work_group_size: 1
    .uses_dynamic_stack: false
    .vgpr_count:     0
    .vgpr_spill_count: 0
    .wavefront_size: 32
    .workgroup_processor_mode: 1
  - .args:
      - .address_space:  global
        .offset:         0
        .size:           8
        .value_kind:     global_buffer
      - .offset:         8
        .size:           8
        .value_kind:     by_value
      - .offset:         16
        .size:           4
        .value_kind:     hidden_block_count_x
      - .offset:         20
        .size:           4
        .value_kind:     hidden_block_count_y
      - .offset:         24
        .size:           4
        .value_kind:     hidden_block_count_z
      - .offset:         28
        .size:           2
        .value_kind:     hidden_group_size_x
      - .offset:         30
        .size:           2
        .value_kind:     hidden_group_size_y
      - .offset:         32
        .size:           2
        .value_kind:     hidden_group_size_z
      - .offset:         34
        .size:           2
        .value_kind:     hidden_remainder_x
      - .offset:         36
        .size:           2
        .value_kind:     hidden_remainder_y
      - .offset:         38
        .size:           2
        .value_kind:     hidden_remainder_z
      - .offset:         56
        .size:           8
        .value_kind:     hidden_global_offset_x
      - .offset:         64
        .size:           8
        .value_kind:     hidden_global_offset_y
      - .offset:         72
        .size:           8
        .value_kind:     hidden_global_offset_z
      - .offset:         80
        .size:           2
        .value_kind:     hidden_grid_dims
    .group_segment_fixed_size: 0
    .kernarg_segment_align: 8
    .kernarg_segment_size: 272
    .language:       OpenCL C
    .language_version:
      - 2
      - 0
    .max_flat_workgroup_size: 1024
    .name:           _Z17test_page_migrateImEvPT_S0_
    .private_segment_fixed_size: 0
    .sgpr_count:     18
    .sgpr_spill_count: 0
    .symbol:         _Z17test_page_migrateImEvPT_S0_.kd
    .uniform_work_group_size: 1
    .uses_dynamic_stack: false
    .vgpr_count:     4
    .vgpr_spill_count: 0
    .wavefront_size: 32
    .workgroup_processor_mode: 1
amdhsa.target:   amdgcn-amd-amdhsa--gfx1100
amdhsa.version:
  - 1
  - 2
...

	.end_amdgpu_metadata
